;; amdgpu-corpus repo=zjin-lcf/HeCBench kind=compiled arch=gfx1250 opt=O3
	.amdgcn_target "amdgcn-amd-amdhsa--gfx1250"
	.amdhsa_code_object_version 6
	.text
	.protected	_Z19kernel_baseToNumberPcl ; -- Begin function _Z19kernel_baseToNumberPcl
	.globl	_Z19kernel_baseToNumberPcl
	.p2align	8
	.type	_Z19kernel_baseToNumberPcl,@function
_Z19kernel_baseToNumberPcl:             ; @_Z19kernel_baseToNumberPcl
; %bb.0:
	s_clause 0x1
	s_load_b32 s2, s[0:1], 0x1c
	s_load_b128 s[16:19], s[0:1], 0x0
	s_wait_xcnt 0x0
	s_bfe_u32 s0, ttmp6, 0x4000c
	s_and_b32 s1, ttmp6, 15
	s_add_co_i32 s0, s0, 1
	s_getreg_b32 s3, hwreg(HW_REG_IB_STS2, 6, 4)
	s_mul_i32 s0, ttmp9, s0
	v_mov_b32_e32 v1, 0
	s_add_co_i32 s1, s1, s0
	s_wait_kmcnt 0x0
	s_and_b32 s2, s2, 0xffff
	s_cmp_eq_u32 s3, 0
	s_cselect_b32 s0, ttmp9, s1
	s_delay_alu instid0(SALU_CYCLE_1) | instskip(SKIP_1) | instid1(VALU_DEP_1)
	v_mad_u32 v0, s0, s2, v0
	s_mov_b32 s0, exec_lo
	v_cmpx_gt_i64_e64 s[18:19], v[0:1]
	s_cbranch_execz .LBB0_44
; %bb.1:
	v_mov_b32_e32 v3, -1
	v_not_b32_e32 v2, v0
	s_mov_b32 s0, -1
	s_mov_b32 s20, exec_lo
	s_delay_alu instid0(VALU_DEP_1) | instskip(NEXT) | instid1(VALU_DEP_1)
	v_add_nc_u64_e32 v[2:3], s[18:19], v[2:3]
	v_cmpx_lt_u64_e32 0x1bfff, v[2:3]
	s_cbranch_execz .LBB0_5
; %bb.2:
	v_lshrrev_b64 v[2:3], 14, v[2:3]
	v_add_nc_u64_e32 v[6:7], s[16:17], v[0:1]
	s_mov_b32 s21, 0
	s_delay_alu instid0(VALU_DEP_2) | instskip(NEXT) | instid1(VALU_DEP_2)
	v_add_nc_u64_e32 v[2:3], 1, v[2:3]
	v_add_nc_u64_e32 v[6:7], 0x1c000, v[6:7]
	s_delay_alu instid0(VALU_DEP_2) | instskip(NEXT) | instid1(VALU_DEP_1)
	v_dual_mov_b32 v5, v3 :: v_dual_bitop2_b32 v4, -8, v2 bitop3:0x40
	v_mov_b64_e32 v[8:9], v[4:5]
.LBB0_3:                                ; =>This Inner Loop Header: Depth=1
	s_clause 0x7
	global_load_u8 v10, v[6:7], off offset:-98304
	global_load_u8 v11, v[6:7], off offset:-114688
	;; [unrolled: 1-line block ×4, first 2 shown]
	global_load_u8 v14, v[6:7], off
	global_load_u8 v15, v[6:7], off offset:-49152
	global_load_u8 v16, v[6:7], off offset:-32768
	;; [unrolled: 1-line block ×3, first 2 shown]
	v_add_nc_u64_e32 v[8:9], -8, v[8:9]
	s_wait_loadcnt 0x7
	v_and_b32_e32 v10, 0xdf, v10
	s_wait_loadcnt 0x6
	v_and_b32_e32 v11, 0xdf, v11
	;; [unrolled: 2-line block ×5, first 2 shown]
	v_cmp_eq_u16_e64 s15, 0x41, v10
	s_wait_loadcnt 0x1
	v_and_b32_e32 v16, 0xdf, v16
	s_wait_loadcnt 0x0
	v_and_b32_e32 v17, 0xdf, v17
	v_and_b32_e32 v15, 0xdf, v15
	v_cmp_eq_u16_e64 s0, 0x54, v14
	v_cndmask_b32_e64 v18, 4, 0, s15
	v_cmp_eq_u16_e64 s15, 0x41, v11
	v_cmp_eq_u16_e64 s8, 0x55, v14
	;; [unrolled: 1-line block ×5, first 2 shown]
	v_cndmask_b32_e64 v19, 4, 0, s15
	v_cmp_eq_u16_e64 s15, 0x41, v12
	v_cmp_eq_u16_e64 s10, 0x55, v16
	s_or_b32 s0, s0, s8
	v_cmp_eq_u16_e64 s3, 0x54, v17
	v_cmp_eq_u16_e64 s11, 0x55, v17
	v_cndmask_b32_e64 v20, 4, 0, s15
	v_cmp_eq_u16_e64 s15, 0x41, v17
	v_cmp_eq_u16_e64 s6, 0x54, v10
	;; [unrolled: 1-line block ×3, first 2 shown]
	v_cmp_eq_u16_e32 vcc_lo, 0x54, v13
	v_cmp_eq_u16_e64 s7, 0x55, v13
	v_cndmask_b32_e64 v21, 4, 0, s15
	v_cmp_eq_u16_e64 s15, 0x41, v16
	v_cmp_eq_u16_e64 s5, 0x54, v11
	;; [unrolled: 1-line block ×3, first 2 shown]
	s_or_b32 s7, vcc_lo, s7
	v_cmp_ne_u16_e32 vcc_lo, 0x47, v10
	v_cndmask_b32_e64 v22, 4, 0, s15
	v_cmp_eq_u16_e64 s15, 0x41, v13
	v_cmp_eq_u16_e64 s4, 0x54, v12
	;; [unrolled: 1-line block ×3, first 2 shown]
	s_delay_alu instid0(VALU_DEP_3) | instskip(SKIP_1) | instid1(VALU_DEP_2)
	v_cndmask_b32_e64 v23, 4, 0, s15
	v_cmp_eq_u16_e64 s15, 0x41, v14
	v_cndmask_b32_e64 v23, v23, 3, s7
	s_delay_alu instid0(VALU_DEP_2) | instskip(SKIP_1) | instid1(VALU_DEP_2)
	v_cndmask_b32_e64 v24, 4, 0, s15
	v_cmp_eq_u16_e64 s15, 0x41, v15
	v_cndmask_b32_e64 v24, v24, 3, s0
	s_delay_alu instid0(VALU_DEP_2)
	v_cndmask_b32_e64 v25, 4, 0, s15
	s_or_b32 s0, s1, s9
	s_delay_alu instid0(VALU_DEP_1) | instid1(SALU_CYCLE_1)
	v_cndmask_b32_e64 v25, v25, 3, s0
	s_or_b32 s0, s2, s10
	s_delay_alu instid0(SALU_CYCLE_1) | instskip(SKIP_1) | instid1(SALU_CYCLE_1)
	v_cndmask_b32_e64 v22, v22, 3, s0
	s_or_b32 s0, s3, s11
	v_cndmask_b32_e64 v21, v21, 3, s0
	s_or_b32 s0, s6, s14
	s_delay_alu instid0(SALU_CYCLE_1) | instskip(SKIP_1) | instid1(SALU_CYCLE_1)
	v_cndmask_b32_e64 v18, v18, 3, s0
	s_or_b32 s0, s5, s13
	v_cndmask_b32_e64 v19, v19, 3, s0
	s_or_b32 s0, s4, s12
	s_delay_alu instid0(VALU_DEP_2) | instskip(SKIP_4) | instid1(VALU_DEP_3)
	v_cndmask_b32_e32 v18, 2, v18, vcc_lo
	v_cmp_ne_u16_e32 vcc_lo, 0x47, v11
	v_cndmask_b32_e64 v20, v20, 3, s0
	v_cndmask_b32_e32 v19, 2, v19, vcc_lo
	v_cmp_ne_u16_e32 vcc_lo, 0x47, v12
	v_cndmask_b32_e32 v20, 2, v20, vcc_lo
	v_cmp_ne_u16_e32 vcc_lo, 0x47, v17
	;; [unrolled: 2-line block ×9, first 2 shown]
	s_delay_alu instid0(VALU_DEP_2) | instskip(SKIP_2) | instid1(VALU_DEP_3)
	v_lshlrev_b16 v14, 8, v14
	v_cndmask_b32_e32 v15, 1, v25, vcc_lo
	v_cmp_ne_u16_e32 vcc_lo, 0x43, v16
	v_or_b32_e32 v14, v13, v14
	v_cndmask_b32_e32 v16, 1, v22, vcc_lo
	v_cmp_ne_u16_e32 vcc_lo, 0x43, v17
	s_delay_alu instid0(VALU_DEP_3) | instskip(NEXT) | instid1(VALU_DEP_3)
	v_lshrrev_b32_e32 v14, 8, v14
	v_lshlrev_b16 v16, 8, v16
	v_cndmask_b32_e32 v17, 1, v21, vcc_lo
	v_cmp_ne_u16_e32 vcc_lo, 0x43, v10
	s_delay_alu instid0(VALU_DEP_3) | instskip(SKIP_1) | instid1(VALU_DEP_2)
	v_dual_cndmask_b32 v10, 1, v18, vcc_lo :: v_dual_bitop2_b32 v16, v15, v16 bitop3:0x54
	v_cmp_ne_u16_e32 vcc_lo, 0x43, v12
	v_lshrrev_b32_e32 v16, 8, v16
	s_delay_alu instid0(VALU_DEP_3) | instskip(SKIP_3) | instid1(VALU_DEP_3)
	v_lshlrev_b16 v10, 8, v10
	v_cndmask_b32_e32 v12, 1, v20, vcc_lo
	v_cmp_ne_u16_e32 vcc_lo, 0x43, v11
	v_cndmask_b32_e32 v11, 1, v19, vcc_lo
	v_lshlrev_b16 v12, 8, v12
	v_cmp_eq_u64_e32 vcc_lo, 0, v[8:9]
	s_delay_alu instid0(VALU_DEP_3) | instskip(NEXT) | instid1(VALU_DEP_3)
	v_or_b32_e32 v10, v11, v10
	v_or_b32_e32 v12, v17, v12
	s_or_b32 s21, vcc_lo, s21
	s_delay_alu instid0(VALU_DEP_1)
	v_dual_lshrrev_b32 v10, 8, v10 :: v_dual_lshrrev_b32 v12, 8, v12
	s_clause 0x7
	global_store_b8 v[6:7], v11, off offset:-114688
	global_store_b8 v[6:7], v10, off offset:-98304
	global_store_b8 v[6:7], v17, off offset:-81920
	global_store_b8 v[6:7], v12, off offset:-65536
	global_store_b8 v[6:7], v15, off offset:-49152
	global_store_b8 v[6:7], v16, off offset:-32768
	global_store_b8 v[6:7], v13, off offset:-16384
	global_store_b8 v[6:7], v14, off
	s_wait_xcnt 0x0
	v_add_nc_u64_e32 v[6:7], 0x20000, v[6:7]
	s_and_not1_b32 exec_lo, exec_lo, s21
	s_cbranch_execnz .LBB0_3
; %bb.4:
	s_or_b32 exec_lo, exec_lo, s21
	v_lshlrev_b64_e32 v[6:7], 14, v[4:5]
	v_cmp_ne_u64_e32 vcc_lo, v[2:3], v[4:5]
	s_delay_alu instid0(VALU_DEP_2)
	v_add_nc_u64_e32 v[0:1], v[6:7], v[0:1]
	s_or_not1_b32 s0, vcc_lo, exec_lo
.LBB0_5:
	s_or_b32 exec_lo, exec_lo, s20
	s_delay_alu instid0(SALU_CYCLE_1)
	s_and_b32 exec_lo, exec_lo, s0
	s_cbranch_execz .LBB0_44
; %bb.6:
	s_mov_b32 s1, 0
	s_branch .LBB0_8
.LBB0_7:                                ;   in Loop: Header=BB0_8 Depth=1
	s_or_b32 exec_lo, exec_lo, s0
	v_add_nc_u64_e32 v[0:1], 0x4000, v[0:1]
	global_store_b8 v[2:3], v5, off
	v_cmp_le_i64_e32 vcc_lo, s[18:19], v[0:1]
	s_or_b32 s1, vcc_lo, s1
	s_wait_xcnt 0x0
	s_and_not1_b32 exec_lo, exec_lo, s1
	s_cbranch_execz .LBB0_44
.LBB0_8:                                ; =>This Inner Loop Header: Depth=1
	v_add_nc_u64_e32 v[2:3], s[16:17], v[0:1]
	s_mov_b32 s0, 0
	s_mov_b32 s6, 0
	;; [unrolled: 1-line block ×5, first 2 shown]
	s_mov_b32 s5, exec_lo
	global_load_u8 v4, v[2:3], off
	s_wait_loadcnt 0x0
	v_cmpx_lt_i16_e32 0x60, v4
	s_xor_b32 s5, exec_lo, s5
	s_cbranch_execnz .LBB0_17
; %bb.9:                                ;   in Loop: Header=BB0_8 Depth=1
	s_or_saveexec_b32 s5, s5
	s_mov_b32 s7, 0
	s_xor_b32 exec_lo, exec_lo, s5
	s_cbranch_execnz .LBB0_30
.LBB0_10:                               ;   in Loop: Header=BB0_8 Depth=1
	s_or_b32 exec_lo, exec_lo, s5
	v_mov_b32_e32 v5, 0
	s_and_saveexec_b32 s5, s6
	s_cbranch_execnz .LBB0_35
.LBB0_11:                               ;   in Loop: Header=BB0_8 Depth=1
	s_or_b32 exec_lo, exec_lo, s5
	s_and_saveexec_b32 s5, s0
	s_cbranch_execnz .LBB0_36
.LBB0_12:                               ;   in Loop: Header=BB0_8 Depth=1
	s_or_b32 exec_lo, exec_lo, s5
	s_and_saveexec_b32 s0, s4
	s_delay_alu instid0(SALU_CYCLE_1)
	s_xor_b32 s0, exec_lo, s0
	s_cbranch_execnz .LBB0_37
.LBB0_13:                               ;   in Loop: Header=BB0_8 Depth=1
	s_or_b32 exec_lo, exec_lo, s0
	s_mov_b32 s0, 0
	s_and_saveexec_b32 s4, s7
	s_cbranch_execnz .LBB0_38
.LBB0_14:                               ;   in Loop: Header=BB0_8 Depth=1
	s_or_b32 exec_lo, exec_lo, s4
	s_and_saveexec_b32 s4, s3
	s_cbranch_execnz .LBB0_41
.LBB0_15:                               ;   in Loop: Header=BB0_8 Depth=1
	s_or_b32 exec_lo, exec_lo, s4
	s_and_saveexec_b32 s3, s0
	s_cbranch_execnz .LBB0_42
.LBB0_16:                               ;   in Loop: Header=BB0_8 Depth=1
	s_or_b32 exec_lo, exec_lo, s3
	s_and_saveexec_b32 s0, s2
	s_cbranch_execz .LBB0_7
	s_branch .LBB0_43
.LBB0_17:                               ;   in Loop: Header=BB0_8 Depth=1
	s_mov_b32 s7, exec_lo
	v_cmpx_lt_i16_e32 0x66, v4
	s_xor_b32 s7, exec_lo, s7
	s_cbranch_execz .LBB0_23
; %bb.18:                               ;   in Loop: Header=BB0_8 Depth=1
	s_mov_b32 s8, exec_lo
	v_cmpx_lt_i16_e32 0x73, v4
	s_xor_b32 s8, exec_lo, s8
; %bb.19:                               ;   in Loop: Header=BB0_8 Depth=1
	v_cmp_gt_i16_e32 vcc_lo, 0x76, v4
	s_mov_b32 s2, exec_lo
	s_and_b32 s6, vcc_lo, exec_lo
; %bb.20:                               ;   in Loop: Header=BB0_8 Depth=1
	s_and_not1_saveexec_b32 s8, s8
; %bb.21:                               ;   in Loop: Header=BB0_8 Depth=1
	v_cmp_eq_u16_e32 vcc_lo, 0x67, v4
	s_or_b32 s2, s2, exec_lo
	s_and_b32 s4, vcc_lo, exec_lo
; %bb.22:                               ;   in Loop: Header=BB0_8 Depth=1
	s_or_b32 exec_lo, exec_lo, s8
	s_delay_alu instid0(SALU_CYCLE_1)
	s_and_b32 s2, s2, exec_lo
	s_and_b32 s4, s4, exec_lo
	;; [unrolled: 1-line block ×3, first 2 shown]
.LBB0_23:                               ;   in Loop: Header=BB0_8 Depth=1
	s_and_not1_saveexec_b32 s7, s7
	s_cbranch_execz .LBB0_29
; %bb.24:                               ;   in Loop: Header=BB0_8 Depth=1
	s_mov_b32 s8, s2
	s_mov_b32 s9, exec_lo
	v_cmpx_lt_i16_e32 0x62, v4
	s_xor_b32 s9, exec_lo, s9
; %bb.25:                               ;   in Loop: Header=BB0_8 Depth=1
	v_cmp_eq_u16_e32 vcc_lo, 0x63, v4
	s_or_b32 s8, s2, exec_lo
	s_and_b32 s3, vcc_lo, exec_lo
; %bb.26:                               ;   in Loop: Header=BB0_8 Depth=1
	s_and_not1_saveexec_b32 s9, s9
; %bb.27:                               ;   in Loop: Header=BB0_8 Depth=1
	v_cmp_ne_u16_e32 vcc_lo, 0x61, v4
	s_and_not1_b32 s8, s8, exec_lo
	s_and_b32 s10, vcc_lo, exec_lo
	s_delay_alu instid0(SALU_CYCLE_1)
	s_or_b32 s8, s8, s10
; %bb.28:                               ;   in Loop: Header=BB0_8 Depth=1
	s_or_b32 exec_lo, exec_lo, s9
	s_delay_alu instid0(SALU_CYCLE_1)
	s_and_not1_b32 s2, s2, exec_lo
	s_and_b32 s8, s8, exec_lo
	s_and_b32 s3, s3, exec_lo
	s_or_b32 s2, s2, s8
.LBB0_29:                               ;   in Loop: Header=BB0_8 Depth=1
	s_or_b32 exec_lo, exec_lo, s7
	s_delay_alu instid0(SALU_CYCLE_1)
	s_and_b32 s2, s2, exec_lo
	s_and_b32 s3, s3, exec_lo
	;; [unrolled: 1-line block ×4, first 2 shown]
	s_or_saveexec_b32 s5, s5
	s_mov_b32 s7, 0
	s_xor_b32 exec_lo, exec_lo, s5
	s_cbranch_execz .LBB0_10
.LBB0_30:                               ;   in Loop: Header=BB0_8 Depth=1
	s_mov_b32 s9, -1
	s_mov_b32 s8, s6
	s_mov_b32 s10, s2
	s_mov_b32 s7, exec_lo
	v_cmpx_lt_i16_e32 0x46, v4
	s_cbranch_execz .LBB0_34
; %bb.31:                               ;   in Loop: Header=BB0_8 Depth=1
	s_mov_b32 s8, -1
	s_mov_b32 s0, s6
	s_mov_b32 s10, s2
	s_mov_b32 s9, exec_lo
	v_cmpx_lt_i16_e32 0x53, v4
; %bb.32:                               ;   in Loop: Header=BB0_8 Depth=1
	v_cmp_lt_i16_e32 vcc_lo, 0x55, v4
	v_cmp_gt_i16_e64 s0, 0x56, v4
	s_and_not1_b32 s10, s2, exec_lo
	s_and_not1_b32 s11, s6, exec_lo
	s_xor_b32 s8, exec_lo, -1
	s_and_b32 s12, vcc_lo, exec_lo
	s_and_b32 s0, s0, exec_lo
	s_or_b32 s10, s10, s12
	s_or_b32 s0, s11, s0
; %bb.33:                               ;   in Loop: Header=BB0_8 Depth=1
	s_or_b32 exec_lo, exec_lo, s9
	s_delay_alu instid0(SALU_CYCLE_1)
	s_and_not1_b32 s9, s2, exec_lo
	s_and_b32 s10, s10, exec_lo
	s_and_not1_b32 s11, s6, exec_lo
	s_and_b32 s12, s0, exec_lo
	s_or_b32 s10, s9, s10
	s_xor_b32 s9, exec_lo, -1
	s_and_b32 s0, s8, exec_lo
	s_or_b32 s8, s11, s12
.LBB0_34:                               ;   in Loop: Header=BB0_8 Depth=1
	s_or_b32 exec_lo, exec_lo, s7
	s_delay_alu instid0(SALU_CYCLE_1)
	s_and_not1_b32 s2, s2, exec_lo
	s_and_b32 s7, s10, exec_lo
	s_and_not1_b32 s6, s6, exec_lo
	s_and_b32 s8, s8, exec_lo
	s_or_b32 s2, s2, s7
	s_and_b32 s7, s9, exec_lo
	s_and_b32 s0, s0, exec_lo
	s_or_b32 s6, s6, s8
	s_or_b32 exec_lo, exec_lo, s5
	v_mov_b32_e32 v5, 0
	s_and_saveexec_b32 s5, s6
	s_cbranch_execz .LBB0_11
.LBB0_35:                               ;   in Loop: Header=BB0_8 Depth=1
	v_mov_b32_e32 v5, 3
	s_and_not1_b32 s2, s2, exec_lo
	s_or_b32 exec_lo, exec_lo, s5
	s_and_saveexec_b32 s5, s0
	s_cbranch_execz .LBB0_12
.LBB0_36:                               ;   in Loop: Header=BB0_8 Depth=1
	v_cmp_ne_u16_e32 vcc_lo, 0x47, v4
	v_cmp_eq_u16_e64 s0, 0x47, v4
	s_and_not1_b32 s2, s2, exec_lo
	s_and_not1_b32 s4, s4, exec_lo
	s_and_b32 s6, vcc_lo, exec_lo
	s_and_b32 s0, s0, exec_lo
	s_or_b32 s2, s2, s6
	s_or_b32 s4, s4, s0
	s_or_b32 exec_lo, exec_lo, s5
	s_and_saveexec_b32 s0, s4
	s_delay_alu instid0(SALU_CYCLE_1)
	s_xor_b32 s0, exec_lo, s0
	s_cbranch_execz .LBB0_13
.LBB0_37:                               ;   in Loop: Header=BB0_8 Depth=1
	v_mov_b32_e32 v5, 2
	s_and_not1_b32 s2, s2, exec_lo
	s_or_b32 exec_lo, exec_lo, s0
	s_mov_b32 s0, 0
	s_and_saveexec_b32 s4, s7
	s_cbranch_execz .LBB0_14
.LBB0_38:                               ;   in Loop: Header=BB0_8 Depth=1
	s_mov_b32 s5, -1
	s_mov_b32 s0, s3
	s_mov_b32 s7, s2
	s_mov_b32 s6, exec_lo
	v_cmpx_lt_i16_e32 0x42, v4
; %bb.39:                               ;   in Loop: Header=BB0_8 Depth=1
	v_cmp_ne_u16_e32 vcc_lo, 0x43, v4
	v_cmp_eq_u16_e64 s0, 0x43, v4
	s_and_not1_b32 s7, s2, exec_lo
	s_and_not1_b32 s8, s3, exec_lo
	s_xor_b32 s5, exec_lo, -1
	s_and_b32 s9, vcc_lo, exec_lo
	s_and_b32 s0, s0, exec_lo
	s_or_b32 s7, s7, s9
	s_or_b32 s0, s8, s0
; %bb.40:                               ;   in Loop: Header=BB0_8 Depth=1
	s_or_b32 exec_lo, exec_lo, s6
	s_delay_alu instid0(SALU_CYCLE_1)
	s_and_not1_b32 s2, s2, exec_lo
	s_and_b32 s6, s7, exec_lo
	s_and_not1_b32 s3, s3, exec_lo
	s_or_b32 s2, s2, s6
	s_and_b32 s6, s0, exec_lo
	s_and_b32 s0, s5, exec_lo
	s_or_b32 s3, s3, s6
	s_or_b32 exec_lo, exec_lo, s4
	s_and_saveexec_b32 s4, s3
	s_cbranch_execz .LBB0_15
.LBB0_41:                               ;   in Loop: Header=BB0_8 Depth=1
	v_mov_b32_e32 v5, 1
	s_and_not1_b32 s2, s2, exec_lo
	s_or_b32 exec_lo, exec_lo, s4
	s_and_saveexec_b32 s3, s0
	s_cbranch_execz .LBB0_16
.LBB0_42:                               ;   in Loop: Header=BB0_8 Depth=1
	v_cmp_ne_u16_e32 vcc_lo, 0x41, v4
	v_mov_b32_e32 v5, 0
	s_and_not1_b32 s0, s2, exec_lo
	s_and_b32 s2, vcc_lo, exec_lo
	s_delay_alu instid0(SALU_CYCLE_1)
	s_or_b32 s2, s0, s2
	s_or_b32 exec_lo, exec_lo, s3
	s_and_saveexec_b32 s0, s2
	s_cbranch_execz .LBB0_7
.LBB0_43:                               ;   in Loop: Header=BB0_8 Depth=1
	v_mov_b32_e32 v5, 4
	s_branch .LBB0_7
.LBB0_44:
	s_endpgm
	.section	.rodata,"a",@progbits
	.p2align	6, 0x0
	.amdhsa_kernel _Z19kernel_baseToNumberPcl
		.amdhsa_group_segment_fixed_size 0
		.amdhsa_private_segment_fixed_size 0
		.amdhsa_kernarg_size 272
		.amdhsa_user_sgpr_count 2
		.amdhsa_user_sgpr_dispatch_ptr 0
		.amdhsa_user_sgpr_queue_ptr 0
		.amdhsa_user_sgpr_kernarg_segment_ptr 1
		.amdhsa_user_sgpr_dispatch_id 0
		.amdhsa_user_sgpr_kernarg_preload_length 0
		.amdhsa_user_sgpr_kernarg_preload_offset 0
		.amdhsa_user_sgpr_private_segment_size 0
		.amdhsa_wavefront_size32 1
		.amdhsa_uses_dynamic_stack 0
		.amdhsa_enable_private_segment 0
		.amdhsa_system_sgpr_workgroup_id_x 1
		.amdhsa_system_sgpr_workgroup_id_y 0
		.amdhsa_system_sgpr_workgroup_id_z 0
		.amdhsa_system_sgpr_workgroup_info 0
		.amdhsa_system_vgpr_workitem_id 0
		.amdhsa_next_free_vgpr 26
		.amdhsa_next_free_sgpr 22
		.amdhsa_named_barrier_count 0
		.amdhsa_reserve_vcc 1
		.amdhsa_float_round_mode_32 0
		.amdhsa_float_round_mode_16_64 0
		.amdhsa_float_denorm_mode_32 3
		.amdhsa_float_denorm_mode_16_64 3
		.amdhsa_fp16_overflow 0
		.amdhsa_memory_ordered 1
		.amdhsa_forward_progress 1
		.amdhsa_inst_pref_size 18
		.amdhsa_round_robin_scheduling 0
		.amdhsa_exception_fp_ieee_invalid_op 0
		.amdhsa_exception_fp_denorm_src 0
		.amdhsa_exception_fp_ieee_div_zero 0
		.amdhsa_exception_fp_ieee_overflow 0
		.amdhsa_exception_fp_ieee_underflow 0
		.amdhsa_exception_fp_ieee_inexact 0
		.amdhsa_exception_int_div_zero 0
	.end_amdhsa_kernel
	.text
.Lfunc_end0:
	.size	_Z19kernel_baseToNumberPcl, .Lfunc_end0-_Z19kernel_baseToNumberPcl
                                        ; -- End function
	.set _Z19kernel_baseToNumberPcl.num_vgpr, 26
	.set _Z19kernel_baseToNumberPcl.num_agpr, 0
	.set _Z19kernel_baseToNumberPcl.numbered_sgpr, 22
	.set _Z19kernel_baseToNumberPcl.num_named_barrier, 0
	.set _Z19kernel_baseToNumberPcl.private_seg_size, 0
	.set _Z19kernel_baseToNumberPcl.uses_vcc, 1
	.set _Z19kernel_baseToNumberPcl.uses_flat_scratch, 0
	.set _Z19kernel_baseToNumberPcl.has_dyn_sized_stack, 0
	.set _Z19kernel_baseToNumberPcl.has_recursion, 0
	.set _Z19kernel_baseToNumberPcl.has_indirect_call, 0
	.section	.AMDGPU.csdata,"",@progbits
; Kernel info:
; codeLenInByte = 2272
; TotalNumSgprs: 24
; NumVgprs: 26
; ScratchSize: 0
; MemoryBound: 0
; FloatMode: 240
; IeeeMode: 1
; LDSByteSize: 0 bytes/workgroup (compile time only)
; SGPRBlocks: 0
; VGPRBlocks: 1
; NumSGPRsForWavesPerEU: 24
; NumVGPRsForWavesPerEU: 26
; NamedBarCnt: 0
; Occupancy: 16
; WaveLimiterHint : 1
; COMPUTE_PGM_RSRC2:SCRATCH_EN: 0
; COMPUTE_PGM_RSRC2:USER_SGPR: 2
; COMPUTE_PGM_RSRC2:TRAP_HANDLER: 0
; COMPUTE_PGM_RSRC2:TGID_X_EN: 1
; COMPUTE_PGM_RSRC2:TGID_Y_EN: 0
; COMPUTE_PGM_RSRC2:TGID_Z_EN: 0
; COMPUTE_PGM_RSRC2:TIDIG_COMP_CNT: 0
	.text
	.protected	_Z19kernel_compressDataPKiPKlPKcPjPii ; -- Begin function _Z19kernel_compressDataPKiPKlPKcPjPii
	.globl	_Z19kernel_compressDataPKiPKlPKcPjPii
	.p2align	8
	.type	_Z19kernel_compressDataPKiPKlPKcPjPii,@function
_Z19kernel_compressDataPKiPKlPKcPjPii:  ; @_Z19kernel_compressDataPKiPKlPKcPjPii
; %bb.0:
	s_clause 0x1
	s_load_b32 s2, s[0:1], 0x3c
	s_load_b32 s3, s[0:1], 0x28
	s_bfe_u32 s4, ttmp6, 0x4000c
	s_and_b32 s5, ttmp6, 15
	s_add_co_i32 s4, s4, 1
	s_getreg_b32 s6, hwreg(HW_REG_IB_STS2, 6, 4)
	s_mul_i32 s4, ttmp9, s4
	s_delay_alu instid0(SALU_CYCLE_1) | instskip(SKIP_4) | instid1(SALU_CYCLE_1)
	s_add_co_i32 s5, s5, s4
	s_wait_kmcnt 0x0
	s_and_b32 s2, s2, 0xffff
	s_cmp_eq_u32 s6, 0
	s_cselect_b32 s4, ttmp9, s5
	v_mad_u32 v0, s4, s2, v0
	s_mov_b32 s2, exec_lo
	s_delay_alu instid0(VALU_DEP_1)
	v_cmpx_gt_i32_e64 s3, v0
	s_cbranch_execz .LBB1_12
; %bb.1:
	s_load_b256 s[4:11], s[0:1], 0x0
	s_mov_b32 s2, exec_lo
	s_wait_xcnt 0x0
	s_load_b64 s[0:1], s[0:1], 0x20
	s_wait_kmcnt 0x0
	s_clause 0x1
	global_load_b64 v[2:3], v0, s[6:7] scale_offset
	global_load_b32 v8, v0, s[4:5] scale_offset
	s_wait_loadcnt 0x1
	v_dual_mov_b32 v5, 0 :: v_dual_ashrrev_i32 v1, 31, v3
	s_delay_alu instid0(VALU_DEP_1) | instskip(NEXT) | instid1(VALU_DEP_1)
	v_dual_lshrrev_b32 v4, 28, v1 :: v_dual_ashrrev_i32 v1, 31, v0
	v_add_nc_u64_e32 v[6:7], v[2:3], v[4:5]
	v_mov_b32_e32 v4, 0
	s_delay_alu instid0(VALU_DEP_2)
	v_ashrrev_i64 v[6:7], 4, v[6:7]
	s_wait_loadcnt 0x0
	v_cmpx_lt_i32_e32 0, v8
	s_cbranch_execz .LBB1_11
; %bb.2:
	v_dual_mov_b32 v10, 0 :: v_dual_ashrrev_i32 v9, 31, v8
	v_mov_b32_e32 v4, 0
	s_mov_b32 s3, 0
	s_delay_alu instid0(VALU_DEP_2)
	v_add_nc_u64_e32 v[8:9], v[2:3], v[8:9]
	s_branch .LBB1_5
.LBB1_3:                                ;   in Loop: Header=BB1_5 Depth=1
	s_or_b32 exec_lo, exec_lo, s5
.LBB1_4:                                ;   in Loop: Header=BB1_5 Depth=1
	s_delay_alu instid0(SALU_CYCLE_1) | instskip(SKIP_1) | instid1(VALU_DEP_1)
	s_or_b32 exec_lo, exec_lo, s4
	v_add_nc_u64_e32 v[2:3], 1, v[2:3]
	v_cmp_ge_i64_e32 vcc_lo, v[2:3], v[8:9]
	s_or_b32 s3, vcc_lo, s3
	s_delay_alu instid0(SALU_CYCLE_1)
	s_and_not1_b32 exec_lo, exec_lo, s3
	s_cbranch_execz .LBB1_10
.LBB1_5:                                ; =>This Inner Loop Header: Depth=1
	v_add_nc_u64_e32 v[12:13], s[8:9], v[2:3]
	s_mov_b32 s4, exec_lo
	global_load_u8 v11, v[12:13], off
	s_wait_loadcnt 0x0
	s_wait_xcnt 0x0
	v_cmpx_lt_u16_e32 3, v11
	s_xor_b32 s4, exec_lo, s4
; %bb.6:                                ;   in Loop: Header=BB1_5 Depth=1
	v_add_nc_u32_e32 v4, 1, v4
                                        ; implicit-def: $vgpr11
; %bb.7:                                ;   in Loop: Header=BB1_5 Depth=1
	s_and_not1_saveexec_b32 s4, s4
	s_cbranch_execz .LBB1_4
; %bb.8:                                ;   in Loop: Header=BB1_5 Depth=1
	v_dual_lshlrev_b32 v12, 1, v5 :: v_dual_add_nc_u32 v5, 1, v5
	v_and_b32_e32 v11, 0xffff, v11
	s_mov_b32 s5, exec_lo
	s_delay_alu instid0(VALU_DEP_2) | instskip(NEXT) | instid1(VALU_DEP_1)
	v_sub_nc_u32_e32 v12, 30, v12
	v_lshl_add_u32 v10, v11, v12, v10
	v_cmpx_eq_u32_e32 16, v5
	s_cbranch_execz .LBB1_3
; %bb.9:                                ;   in Loop: Header=BB1_5 Depth=1
	v_add_nc_u64_e32 v[12:13], 1, v[6:7]
	v_lshl_add_u64 v[6:7], v[6:7], 2, s[10:11]
	v_mov_b32_e32 v5, 0
	global_store_b32 v[6:7], v10, off
	s_wait_xcnt 0x0
	v_mov_b64_e32 v[6:7], v[12:13]
	v_mov_b32_e32 v10, 0
	s_branch .LBB1_3
.LBB1_10:
	s_or_b32 exec_lo, exec_lo, s3
	v_mov_b32_e32 v5, v10
.LBB1_11:
	s_or_b32 exec_lo, exec_lo, s2
	s_delay_alu instid0(VALU_DEP_2)
	v_lshl_add_u64 v[2:3], v[6:7], 2, s[10:11]
	v_lshl_add_u64 v[0:1], v[0:1], 2, s[0:1]
	global_store_b32 v[2:3], v5, off
	global_store_b32 v[0:1], v4, off
.LBB1_12:
	s_endpgm
	.section	.rodata,"a",@progbits
	.p2align	6, 0x0
	.amdhsa_kernel _Z19kernel_compressDataPKiPKlPKcPjPii
		.amdhsa_group_segment_fixed_size 0
		.amdhsa_private_segment_fixed_size 0
		.amdhsa_kernarg_size 304
		.amdhsa_user_sgpr_count 2
		.amdhsa_user_sgpr_dispatch_ptr 0
		.amdhsa_user_sgpr_queue_ptr 0
		.amdhsa_user_sgpr_kernarg_segment_ptr 1
		.amdhsa_user_sgpr_dispatch_id 0
		.amdhsa_user_sgpr_kernarg_preload_length 0
		.amdhsa_user_sgpr_kernarg_preload_offset 0
		.amdhsa_user_sgpr_private_segment_size 0
		.amdhsa_wavefront_size32 1
		.amdhsa_uses_dynamic_stack 0
		.amdhsa_enable_private_segment 0
		.amdhsa_system_sgpr_workgroup_id_x 1
		.amdhsa_system_sgpr_workgroup_id_y 0
		.amdhsa_system_sgpr_workgroup_id_z 0
		.amdhsa_system_sgpr_workgroup_info 0
		.amdhsa_system_vgpr_workitem_id 0
		.amdhsa_next_free_vgpr 14
		.amdhsa_next_free_sgpr 12
		.amdhsa_named_barrier_count 0
		.amdhsa_reserve_vcc 1
		.amdhsa_float_round_mode_32 0
		.amdhsa_float_round_mode_16_64 0
		.amdhsa_float_denorm_mode_32 3
		.amdhsa_float_denorm_mode_16_64 3
		.amdhsa_fp16_overflow 0
		.amdhsa_memory_ordered 1
		.amdhsa_forward_progress 1
		.amdhsa_inst_pref_size 4
		.amdhsa_round_robin_scheduling 0
		.amdhsa_exception_fp_ieee_invalid_op 0
		.amdhsa_exception_fp_denorm_src 0
		.amdhsa_exception_fp_ieee_div_zero 0
		.amdhsa_exception_fp_ieee_overflow 0
		.amdhsa_exception_fp_ieee_underflow 0
		.amdhsa_exception_fp_ieee_inexact 0
		.amdhsa_exception_int_div_zero 0
	.end_amdhsa_kernel
	.text
.Lfunc_end1:
	.size	_Z19kernel_compressDataPKiPKlPKcPjPii, .Lfunc_end1-_Z19kernel_compressDataPKiPKlPKcPjPii
                                        ; -- End function
	.set _Z19kernel_compressDataPKiPKlPKcPjPii.num_vgpr, 14
	.set _Z19kernel_compressDataPKiPKlPKcPjPii.num_agpr, 0
	.set _Z19kernel_compressDataPKiPKlPKcPjPii.numbered_sgpr, 12
	.set _Z19kernel_compressDataPKiPKlPKcPjPii.num_named_barrier, 0
	.set _Z19kernel_compressDataPKiPKlPKcPjPii.private_seg_size, 0
	.set _Z19kernel_compressDataPKiPKlPKcPjPii.uses_vcc, 1
	.set _Z19kernel_compressDataPKiPKlPKcPjPii.uses_flat_scratch, 0
	.set _Z19kernel_compressDataPKiPKlPKcPjPii.has_dyn_sized_stack, 0
	.set _Z19kernel_compressDataPKiPKlPKcPjPii.has_recursion, 0
	.set _Z19kernel_compressDataPKiPKlPKcPjPii.has_indirect_call, 0
	.section	.AMDGPU.csdata,"",@progbits
; Kernel info:
; codeLenInByte = 484
; TotalNumSgprs: 14
; NumVgprs: 14
; ScratchSize: 0
; MemoryBound: 0
; FloatMode: 240
; IeeeMode: 1
; LDSByteSize: 0 bytes/workgroup (compile time only)
; SGPRBlocks: 0
; VGPRBlocks: 0
; NumSGPRsForWavesPerEU: 14
; NumVGPRsForWavesPerEU: 14
; NamedBarCnt: 0
; Occupancy: 16
; WaveLimiterHint : 0
; COMPUTE_PGM_RSRC2:SCRATCH_EN: 0
; COMPUTE_PGM_RSRC2:USER_SGPR: 2
; COMPUTE_PGM_RSRC2:TRAP_HANDLER: 0
; COMPUTE_PGM_RSRC2:TGID_X_EN: 1
; COMPUTE_PGM_RSRC2:TGID_Y_EN: 0
; COMPUTE_PGM_RSRC2:TGID_Z_EN: 0
; COMPUTE_PGM_RSRC2:TIDIG_COMP_CNT: 0
	.text
	.protected	_Z19kernel_createIndex4PKcPKiPKlPtS5_PlPii ; -- Begin function _Z19kernel_createIndex4PKcPKiPKlPtS5_PlPii
	.globl	_Z19kernel_createIndex4PKcPKiPKlPtS5_PlPii
	.p2align	8
	.type	_Z19kernel_createIndex4PKcPKiPKlPtS5_PlPii,@function
_Z19kernel_createIndex4PKcPKiPKlPtS5_PlPii: ; @_Z19kernel_createIndex4PKcPKiPKlPtS5_PlPii
; %bb.0:
	s_clause 0x1
	s_load_b32 s2, s[0:1], 0x4c
	s_load_b32 s3, s[0:1], 0x38
	s_bfe_u32 s4, ttmp6, 0x4000c
	s_and_b32 s5, ttmp6, 15
	s_add_co_i32 s4, s4, 1
	s_getreg_b32 s6, hwreg(HW_REG_IB_STS2, 6, 4)
	s_mul_i32 s4, ttmp9, s4
	s_delay_alu instid0(SALU_CYCLE_1) | instskip(SKIP_4) | instid1(SALU_CYCLE_1)
	s_add_co_i32 s5, s5, s4
	s_wait_kmcnt 0x0
	s_and_b32 s2, s2, 0xffff
	s_cmp_eq_u32 s6, 0
	s_cselect_b32 s4, ttmp9, s5
	v_mad_u32 v4, s4, s2, v0
	s_mov_b32 s2, exec_lo
	s_delay_alu instid0(VALU_DEP_1)
	v_cmpx_gt_i32_e64 s3, v4
	s_cbranch_execz .LBB2_20
; %bb.1:
	s_load_b256 s[4:11], s[0:1], 0x0
	v_mov_b64_e32 v[6:7], 0
	v_dual_ashrrev_i32 v5, 31, v4 :: v_dual_mov_b32 v3, 0
	v_dual_mov_b32 v2, 0 :: v_dual_mov_b32 v1, 0
	v_mov_b32_e32 v0, 0
	s_mov_b32 s3, exec_lo
	s_wait_kmcnt 0x0
	global_load_b32 v10, v4, s[6:7] scale_offset
	s_wait_loadcnt 0x0
	v_cmpx_lt_i32_e32 0, v10
	s_cbranch_execz .LBB2_19
; %bb.2:
	v_lshl_add_u64 v[0:1], v[4:5], 3, s[8:9]
	v_dual_mov_b32 v15, 4 :: v_dual_mov_b32 v6, 0
	v_dual_mov_b32 v2, 0 :: v_dual_mov_b32 v3, 0
	global_load_b32 v8, v[0:1], off
	s_wait_xcnt 0x0
	v_dual_mov_b32 v0, 0 :: v_dual_mov_b32 v1, 0
	s_wait_loadcnt 0x0
	v_dual_mov_b32 v14, 4 :: v_dual_ashrrev_i32 v9, 31, v8
	v_add_nc_u32_e32 v7, v10, v8
	s_delay_alu instid0(VALU_DEP_2)
	v_add_nc_u64_e32 v[10:11], s[4:5], v[8:9]
	v_lshl_add_u64 v[12:13], v[8:9], 1, s[10:11]
	v_mov_b32_e32 v9, 4
	s_mov_b32 s4, 0
	s_branch .LBB2_5
.LBB2_3:                                ;   in Loop: Header=BB2_5 Depth=1
	s_or_b32 exec_lo, exec_lo, s5
.LBB2_4:                                ;   in Loop: Header=BB2_5 Depth=1
	s_delay_alu instid0(SALU_CYCLE_1)
	s_or_b32 exec_lo, exec_lo, s2
	v_bfe_i32 v18, v9, 0, 8
	v_bfe_i32 v19, v14, 0, 8
	;; [unrolled: 1-line block ×4, first 2 shown]
	v_lshlrev_b16 v21, 4, v9
	v_max_i16 v18, v18, 3
	v_max_i16 v19, v19, 3
	;; [unrolled: 1-line block ×4, first 2 shown]
	v_lshlrev_b16 v15, 6, v15
	v_lshlrev_b16 v22, 2, v14
	v_add_nc_u16 v18, v18, v19
	v_and_b32_e32 v17, 0xffff, v17
	v_dual_add_nc_u32 v8, 1, v8 :: v_dual_bitop2_b32 v19, 48, v21 bitop3:0x40
	v_and_b32_e32 v20, 0xffff, v20
	s_delay_alu instid0(VALU_DEP_4) | instskip(SKIP_1) | instid1(VALU_DEP_4)
	v_and_b32_e32 v18, 0xffff, v18
	v_and_b32_e32 v21, 12, v22
	v_bitop3_b16 v15, v15, v19, 0xc0 bitop3:0xec
	v_add_nc_u64_e32 v[10:11], 1, v[10:11]
	v_sub_nc_u32_e32 v19, 0, v20
	v_add3_u32 v17, v17, v18, -12
	v_cmp_ge_i32_e64 s2, v8, v7
	s_delay_alu instid0(VALU_DEP_2) | instskip(SKIP_3) | instid1(VALU_DEP_2)
	v_cmp_eq_u32_e32 vcc_lo, v17, v19
	v_and_b32_e32 v22, 3, v16
	s_or_b32 s4, s2, s4
	v_add_co_ci_u32_e64 v6, null, 0, v6, vcc_lo
	v_bitop3_b16 v15, v15, v22, v21 bitop3:0xfe
	s_delay_alu instid0(VALU_DEP_1)
	v_cndmask_b32_e32 v15, -1, v15, vcc_lo
	global_store_b16 v[12:13], v15, off
	s_wait_xcnt 0x0
	v_add_nc_u64_e32 v[12:13], 2, v[12:13]
	v_dual_mov_b32 v15, v9 :: v_dual_mov_b32 v9, v14
	v_mov_b32_e32 v14, v16
	s_and_not1_b32 exec_lo, exec_lo, s4
	s_cbranch_execz .LBB2_18
.LBB2_5:                                ; =>This Inner Loop Header: Depth=1
	global_load_u8 v16, v[10:11], off
	s_mov_b32 s2, exec_lo
	s_wait_loadcnt 0x0
	s_wait_xcnt 0x0
	v_cmpx_lt_i16_e32 1, v16
	s_xor_b32 s2, exec_lo, s2
	s_cbranch_execz .LBB2_13
; %bb.6:                                ;   in Loop: Header=BB2_5 Depth=1
	s_mov_b32 s5, exec_lo
	v_cmpx_lt_i16_e32 2, v16
	s_xor_b32 s5, exec_lo, s5
	s_cbranch_execz .LBB2_10
; %bb.7:                                ;   in Loop: Header=BB2_5 Depth=1
	s_mov_b32 s6, exec_lo
	v_cmpx_eq_u16_e32 3, v16
; %bb.8:                                ;   in Loop: Header=BB2_5 Depth=1
	v_add_nc_u32_e32 v3, 1, v3
; %bb.9:                                ;   in Loop: Header=BB2_5 Depth=1
	s_or_b32 exec_lo, exec_lo, s6
.LBB2_10:                               ;   in Loop: Header=BB2_5 Depth=1
	s_and_not1_saveexec_b32 s5, s5
; %bb.11:                               ;   in Loop: Header=BB2_5 Depth=1
	v_add_nc_u32_e32 v2, 1, v2
; %bb.12:                               ;   in Loop: Header=BB2_5 Depth=1
	s_or_b32 exec_lo, exec_lo, s5
.LBB2_13:                               ;   in Loop: Header=BB2_5 Depth=1
	s_and_not1_saveexec_b32 s2, s2
	s_cbranch_execz .LBB2_4
; %bb.14:                               ;   in Loop: Header=BB2_5 Depth=1
	s_mov_b32 s5, exec_lo
	v_cmpx_lt_i16_e32 0, v16
	s_xor_b32 s5, exec_lo, s5
; %bb.15:                               ;   in Loop: Header=BB2_5 Depth=1
	v_add_nc_u32_e32 v1, 1, v1
; %bb.16:                               ;   in Loop: Header=BB2_5 Depth=1
	s_and_not1_saveexec_b32 s5, s5
	s_cbranch_execz .LBB2_3
; %bb.17:                               ;   in Loop: Header=BB2_5 Depth=1
	v_add_nc_u32_e32 v0, 1, v0
	s_branch .LBB2_3
.LBB2_18:
	s_or_b32 exec_lo, exec_lo, s4
	v_mov_b32_e32 v7, 0
.LBB2_19:
	s_or_b32 exec_lo, exec_lo, s3
	s_load_b128 s[4:7], s[0:1], 0x28
	v_lshlrev_b32_e32 v8, 2, v4
	s_delay_alu instid0(VALU_DEP_1) | instskip(SKIP_2) | instid1(VALU_DEP_2)
	v_ashrrev_i32_e32 v9, 31, v8
	s_wait_kmcnt 0x0
	v_lshl_add_u64 v[4:5], v[4:5], 3, s[4:5]
	v_lshl_add_u64 v[8:9], v[8:9], 2, s[6:7]
	global_store_b64 v[4:5], v[6:7], off
	global_store_b128 v[8:9], v[0:3], off
.LBB2_20:
	s_endpgm
	.section	.rodata,"a",@progbits
	.p2align	6, 0x0
	.amdhsa_kernel _Z19kernel_createIndex4PKcPKiPKlPtS5_PlPii
		.amdhsa_group_segment_fixed_size 0
		.amdhsa_private_segment_fixed_size 0
		.amdhsa_kernarg_size 320
		.amdhsa_user_sgpr_count 2
		.amdhsa_user_sgpr_dispatch_ptr 0
		.amdhsa_user_sgpr_queue_ptr 0
		.amdhsa_user_sgpr_kernarg_segment_ptr 1
		.amdhsa_user_sgpr_dispatch_id 0
		.amdhsa_user_sgpr_kernarg_preload_length 0
		.amdhsa_user_sgpr_kernarg_preload_offset 0
		.amdhsa_user_sgpr_private_segment_size 0
		.amdhsa_wavefront_size32 1
		.amdhsa_uses_dynamic_stack 0
		.amdhsa_enable_private_segment 0
		.amdhsa_system_sgpr_workgroup_id_x 1
		.amdhsa_system_sgpr_workgroup_id_y 0
		.amdhsa_system_sgpr_workgroup_id_z 0
		.amdhsa_system_sgpr_workgroup_info 0
		.amdhsa_system_vgpr_workitem_id 0
		.amdhsa_next_free_vgpr 23
		.amdhsa_next_free_sgpr 12
		.amdhsa_named_barrier_count 0
		.amdhsa_reserve_vcc 1
		.amdhsa_float_round_mode_32 0
		.amdhsa_float_round_mode_16_64 0
		.amdhsa_float_denorm_mode_32 3
		.amdhsa_float_denorm_mode_16_64 3
		.amdhsa_fp16_overflow 0
		.amdhsa_memory_ordered 1
		.amdhsa_forward_progress 1
		.amdhsa_inst_pref_size 6
		.amdhsa_round_robin_scheduling 0
		.amdhsa_exception_fp_ieee_invalid_op 0
		.amdhsa_exception_fp_denorm_src 0
		.amdhsa_exception_fp_ieee_div_zero 0
		.amdhsa_exception_fp_ieee_overflow 0
		.amdhsa_exception_fp_ieee_underflow 0
		.amdhsa_exception_fp_ieee_inexact 0
		.amdhsa_exception_int_div_zero 0
	.end_amdhsa_kernel
	.text
.Lfunc_end2:
	.size	_Z19kernel_createIndex4PKcPKiPKlPtS5_PlPii, .Lfunc_end2-_Z19kernel_createIndex4PKcPKiPKlPtS5_PlPii
                                        ; -- End function
	.set _Z19kernel_createIndex4PKcPKiPKlPtS5_PlPii.num_vgpr, 23
	.set _Z19kernel_createIndex4PKcPKiPKlPtS5_PlPii.num_agpr, 0
	.set _Z19kernel_createIndex4PKcPKiPKlPtS5_PlPii.numbered_sgpr, 12
	.set _Z19kernel_createIndex4PKcPKiPKlPtS5_PlPii.num_named_barrier, 0
	.set _Z19kernel_createIndex4PKcPKiPKlPtS5_PlPii.private_seg_size, 0
	.set _Z19kernel_createIndex4PKcPKiPKlPtS5_PlPii.uses_vcc, 1
	.set _Z19kernel_createIndex4PKcPKiPKlPtS5_PlPii.uses_flat_scratch, 0
	.set _Z19kernel_createIndex4PKcPKiPKlPtS5_PlPii.has_dyn_sized_stack, 0
	.set _Z19kernel_createIndex4PKcPKiPKlPtS5_PlPii.has_recursion, 0
	.set _Z19kernel_createIndex4PKcPKiPKlPtS5_PlPii.has_indirect_call, 0
	.section	.AMDGPU.csdata,"",@progbits
; Kernel info:
; codeLenInByte = 732
; TotalNumSgprs: 14
; NumVgprs: 23
; ScratchSize: 0
; MemoryBound: 0
; FloatMode: 240
; IeeeMode: 1
; LDSByteSize: 0 bytes/workgroup (compile time only)
; SGPRBlocks: 0
; VGPRBlocks: 1
; NumSGPRsForWavesPerEU: 14
; NumVGPRsForWavesPerEU: 23
; NamedBarCnt: 0
; Occupancy: 16
; WaveLimiterHint : 0
; COMPUTE_PGM_RSRC2:SCRATCH_EN: 0
; COMPUTE_PGM_RSRC2:USER_SGPR: 2
; COMPUTE_PGM_RSRC2:TRAP_HANDLER: 0
; COMPUTE_PGM_RSRC2:TGID_X_EN: 1
; COMPUTE_PGM_RSRC2:TGID_Y_EN: 0
; COMPUTE_PGM_RSRC2:TGID_Z_EN: 0
; COMPUTE_PGM_RSRC2:TIDIG_COMP_CNT: 0
	.text
	.protected	_Z19kernel_createIndex5PKcPKiPKlPtS5_PlPii ; -- Begin function _Z19kernel_createIndex5PKcPKiPKlPtS5_PlPii
	.globl	_Z19kernel_createIndex5PKcPKiPKlPtS5_PlPii
	.p2align	8
	.type	_Z19kernel_createIndex5PKcPKiPKlPtS5_PlPii,@function
_Z19kernel_createIndex5PKcPKiPKlPtS5_PlPii: ; @_Z19kernel_createIndex5PKcPKiPKlPtS5_PlPii
; %bb.0:
	s_clause 0x1
	s_load_b32 s2, s[0:1], 0x4c
	s_load_b32 s3, s[0:1], 0x38
	s_bfe_u32 s4, ttmp6, 0x4000c
	s_and_b32 s5, ttmp6, 15
	s_add_co_i32 s4, s4, 1
	s_getreg_b32 s6, hwreg(HW_REG_IB_STS2, 6, 4)
	s_mul_i32 s4, ttmp9, s4
	s_delay_alu instid0(SALU_CYCLE_1) | instskip(SKIP_4) | instid1(SALU_CYCLE_1)
	s_add_co_i32 s5, s5, s4
	s_wait_kmcnt 0x0
	s_and_b32 s2, s2, 0xffff
	s_cmp_eq_u32 s6, 0
	s_cselect_b32 s4, ttmp9, s5
	v_mad_u32 v4, s4, s2, v0
	s_mov_b32 s2, exec_lo
	s_delay_alu instid0(VALU_DEP_1)
	v_cmpx_gt_i32_e64 s3, v4
	s_cbranch_execz .LBB3_20
; %bb.1:
	s_load_b256 s[4:11], s[0:1], 0x0
	v_mov_b64_e32 v[6:7], 0
	v_dual_ashrrev_i32 v5, 31, v4 :: v_dual_mov_b32 v3, 0
	v_dual_mov_b32 v2, 0 :: v_dual_mov_b32 v1, 0
	v_mov_b32_e32 v0, 0
	s_mov_b32 s3, exec_lo
	s_wait_kmcnt 0x0
	global_load_b32 v10, v4, s[6:7] scale_offset
	s_wait_loadcnt 0x0
	v_cmpx_lt_i32_e32 0, v10
	s_cbranch_execz .LBB3_19
; %bb.2:
	v_lshl_add_u64 v[0:1], v[4:5], 3, s[8:9]
	v_dual_mov_b32 v17, 4 :: v_dual_mov_b32 v6, 0
	v_dual_mov_b32 v3, 0 :: v_dual_mov_b32 v14, 4
	global_load_b32 v8, v[0:1], off
	s_wait_xcnt 0x0
	v_dual_mov_b32 v0, 0 :: v_dual_mov_b32 v1, 0
	v_dual_mov_b32 v15, 4 :: v_dual_mov_b32 v2, 0
	s_wait_loadcnt 0x0
	v_dual_mov_b32 v16, 4 :: v_dual_add_nc_u32 v7, v10, v8
	v_ashrrev_i32_e32 v9, 31, v8
	s_delay_alu instid0(VALU_DEP_1)
	v_add_nc_u64_e32 v[10:11], s[4:5], v[8:9]
	v_lshl_add_u64 v[12:13], v[8:9], 1, s[10:11]
	v_mov_b32_e32 v9, 4
	s_mov_b32 s4, 0
	s_branch .LBB3_5
.LBB3_3:                                ;   in Loop: Header=BB3_5 Depth=1
	s_or_b32 exec_lo, exec_lo, s5
.LBB3_4:                                ;   in Loop: Header=BB3_5 Depth=1
	s_delay_alu instid0(SALU_CYCLE_1)
	s_or_b32 exec_lo, exec_lo, s2
	v_lshlrev_b16 v19, 8, v15
	v_perm_b32 v17, v17, v14, 0xc0c0004
	v_lshlrev_b16 v21, 8, v16
	v_lshlrev_b16 v24, 2, v18
	v_bfe_i32 v20, v18, 0, 8
	v_bitop3_b16 v19, v16, v19, 0xff bitop3:0xec
	v_lshlrev_b16 v16, 6, v16
	v_bfe_i32 v23, v9, 0, 8
	v_lshlrev_b16 v18, 8, v18
	v_max_i16 v20, v20, 3
	v_dual_lshlrev_b32 v22, 16, v19 :: v_dual_bitop2_b32 v25, 3, v9 bitop3:0x40
	v_and_b32_e32 v26, 0xc0, v16
	v_bfe_i32 v16, v19, 0, 8
	v_max_i16 v23, v23, 3
	s_delay_alu instid0(VALU_DEP_4) | instskip(SKIP_1) | instid1(VALU_DEP_4)
	v_dual_lshrrev_b32 v22, 24, v22 :: v_dual_bitop2_b32 v17, v17, v22 bitop3:0x54
	v_and_b32_e32 v20, 0xffff, v20
	v_max_i16 v16, v16, 3
	v_add_nc_u64_e32 v[10:11], 1, v[10:11]
	s_delay_alu instid0(VALU_DEP_4) | instskip(SKIP_3) | instid1(VALU_DEP_4)
	v_dual_lshrrev_b32 v17, 8, v17 :: v_dual_bitop2_b32 v24, 12, v24 bitop3:0x40
	v_bfe_i32 v19, v22, 0, 8
	v_lshlrev_b16 v22, 4, v22
	v_lshrrev_b32_e32 v21, 8, v21
	v_bfe_i32 v27, v17, 0, 8
	v_lshlrev_b16 v17, 8, v17
	v_max_i16 v19, v19, 3
	v_add_nc_u32_e32 v8, 1, v8
	s_delay_alu instid0(VALU_DEP_4) | instskip(NEXT) | instid1(VALU_DEP_4)
	v_max_i16 v27, v27, 3
	v_and_b32_e32 v17, 0x300, v17
	s_delay_alu instid0(VALU_DEP_4)
	v_add_nc_u16 v19, v16, v19
	v_bitop3_b16 v16, v15, v18, 0xff bitop3:0xec
	v_and_b32_e32 v15, 48, v22
	v_and_b32_e32 v18, 0xffff, v27
	;; [unrolled: 1-line block ×4, first 2 shown]
	v_lshlrev_b16 v21, 8, v21
	v_bitop3_b16 v15, v17, v15, v26 bitop3:0xfe
	v_cmp_ge_i32_e64 s2, v8, v7
	s_delay_alu instid0(VALU_DEP_4)
	v_dual_sub_nc_u32 v17, 0, v22 :: v_dual_add_nc_u32 v18, v18, v19
	v_lshlrev_b32_e32 v19, 16, v16
	v_and_b32_e32 v22, 0xffff, v21
	v_bitop3_b16 v15, v15, v25, v24 bitop3:0xfe
	s_or_b32 s4, s2, s4
	v_add3_u32 v18, v18, v20, -15
	s_delay_alu instid0(VALU_DEP_3) | instskip(NEXT) | instid1(VALU_DEP_2)
	v_or_b32_e32 v20, v22, v19
	v_cmp_eq_u32_e32 vcc_lo, v18, v17
	v_bitop3_b16 v17, v14, v21, 0xff bitop3:0xec
	v_cndmask_b32_e32 v15, -1, v15, vcc_lo
	v_add_co_ci_u32_e64 v6, null, 0, v6, vcc_lo
	global_store_b16 v[12:13], v15, off
	s_wait_xcnt 0x0
	v_add_nc_u64_e32 v[12:13], 2, v[12:13]
	v_dual_lshrrev_b32 v15, 24, v19 :: v_dual_lshrrev_b32 v14, 8, v20
	s_and_not1_b32 exec_lo, exec_lo, s4
	s_cbranch_execz .LBB3_18
.LBB3_5:                                ; =>This Inner Loop Header: Depth=1
	s_delay_alu instid0(VALU_DEP_1)
	v_mov_b32_e32 v18, v9
	global_load_u8 v9, v[10:11], off
	s_mov_b32 s2, exec_lo
	s_wait_loadcnt 0x0
	s_wait_xcnt 0x0
	v_cmpx_lt_i16_e32 1, v9
	s_xor_b32 s2, exec_lo, s2
	s_cbranch_execz .LBB3_13
; %bb.6:                                ;   in Loop: Header=BB3_5 Depth=1
	s_mov_b32 s5, exec_lo
	v_cmpx_lt_i16_e32 2, v9
	s_xor_b32 s5, exec_lo, s5
	s_cbranch_execz .LBB3_10
; %bb.7:                                ;   in Loop: Header=BB3_5 Depth=1
	s_mov_b32 s6, exec_lo
	v_cmpx_eq_u16_e32 3, v9
; %bb.8:                                ;   in Loop: Header=BB3_5 Depth=1
	v_add_nc_u32_e32 v3, 1, v3
; %bb.9:                                ;   in Loop: Header=BB3_5 Depth=1
	s_or_b32 exec_lo, exec_lo, s6
.LBB3_10:                               ;   in Loop: Header=BB3_5 Depth=1
	s_and_not1_saveexec_b32 s5, s5
; %bb.11:                               ;   in Loop: Header=BB3_5 Depth=1
	v_add_nc_u32_e32 v2, 1, v2
; %bb.12:                               ;   in Loop: Header=BB3_5 Depth=1
	s_or_b32 exec_lo, exec_lo, s5
.LBB3_13:                               ;   in Loop: Header=BB3_5 Depth=1
	s_and_not1_saveexec_b32 s2, s2
	s_cbranch_execz .LBB3_4
; %bb.14:                               ;   in Loop: Header=BB3_5 Depth=1
	s_mov_b32 s5, exec_lo
	v_cmpx_lt_i16_e32 0, v9
	s_xor_b32 s5, exec_lo, s5
; %bb.15:                               ;   in Loop: Header=BB3_5 Depth=1
	v_add_nc_u32_e32 v1, 1, v1
; %bb.16:                               ;   in Loop: Header=BB3_5 Depth=1
	s_and_not1_saveexec_b32 s5, s5
	s_cbranch_execz .LBB3_3
; %bb.17:                               ;   in Loop: Header=BB3_5 Depth=1
	v_add_nc_u32_e32 v0, 1, v0
	s_branch .LBB3_3
.LBB3_18:
	s_or_b32 exec_lo, exec_lo, s4
	v_mov_b32_e32 v7, 0
.LBB3_19:
	s_or_b32 exec_lo, exec_lo, s3
	s_load_b128 s[4:7], s[0:1], 0x28
	v_lshlrev_b32_e32 v8, 2, v4
	s_delay_alu instid0(VALU_DEP_1) | instskip(SKIP_2) | instid1(VALU_DEP_2)
	v_ashrrev_i32_e32 v9, 31, v8
	s_wait_kmcnt 0x0
	v_lshl_add_u64 v[4:5], v[4:5], 3, s[4:5]
	v_lshl_add_u64 v[8:9], v[8:9], 2, s[6:7]
	global_store_b64 v[4:5], v[6:7], off
	global_store_b128 v[8:9], v[0:3], off
.LBB3_20:
	s_endpgm
	.section	.rodata,"a",@progbits
	.p2align	6, 0x0
	.amdhsa_kernel _Z19kernel_createIndex5PKcPKiPKlPtS5_PlPii
		.amdhsa_group_segment_fixed_size 0
		.amdhsa_private_segment_fixed_size 0
		.amdhsa_kernarg_size 320
		.amdhsa_user_sgpr_count 2
		.amdhsa_user_sgpr_dispatch_ptr 0
		.amdhsa_user_sgpr_queue_ptr 0
		.amdhsa_user_sgpr_kernarg_segment_ptr 1
		.amdhsa_user_sgpr_dispatch_id 0
		.amdhsa_user_sgpr_kernarg_preload_length 0
		.amdhsa_user_sgpr_kernarg_preload_offset 0
		.amdhsa_user_sgpr_private_segment_size 0
		.amdhsa_wavefront_size32 1
		.amdhsa_uses_dynamic_stack 0
		.amdhsa_enable_private_segment 0
		.amdhsa_system_sgpr_workgroup_id_x 1
		.amdhsa_system_sgpr_workgroup_id_y 0
		.amdhsa_system_sgpr_workgroup_id_z 0
		.amdhsa_system_sgpr_workgroup_info 0
		.amdhsa_system_vgpr_workitem_id 0
		.amdhsa_next_free_vgpr 28
		.amdhsa_next_free_sgpr 12
		.amdhsa_named_barrier_count 0
		.amdhsa_reserve_vcc 1
		.amdhsa_float_round_mode_32 0
		.amdhsa_float_round_mode_16_64 0
		.amdhsa_float_denorm_mode_32 3
		.amdhsa_float_denorm_mode_16_64 3
		.amdhsa_fp16_overflow 0
		.amdhsa_memory_ordered 1
		.amdhsa_forward_progress 1
		.amdhsa_inst_pref_size 8
		.amdhsa_round_robin_scheduling 0
		.amdhsa_exception_fp_ieee_invalid_op 0
		.amdhsa_exception_fp_denorm_src 0
		.amdhsa_exception_fp_ieee_div_zero 0
		.amdhsa_exception_fp_ieee_overflow 0
		.amdhsa_exception_fp_ieee_underflow 0
		.amdhsa_exception_fp_ieee_inexact 0
		.amdhsa_exception_int_div_zero 0
	.end_amdhsa_kernel
	.text
.Lfunc_end3:
	.size	_Z19kernel_createIndex5PKcPKiPKlPtS5_PlPii, .Lfunc_end3-_Z19kernel_createIndex5PKcPKiPKlPtS5_PlPii
                                        ; -- End function
	.set _Z19kernel_createIndex5PKcPKiPKlPtS5_PlPii.num_vgpr, 28
	.set _Z19kernel_createIndex5PKcPKiPKlPtS5_PlPii.num_agpr, 0
	.set _Z19kernel_createIndex5PKcPKiPKlPtS5_PlPii.numbered_sgpr, 12
	.set _Z19kernel_createIndex5PKcPKiPKlPtS5_PlPii.num_named_barrier, 0
	.set _Z19kernel_createIndex5PKcPKiPKlPtS5_PlPii.private_seg_size, 0
	.set _Z19kernel_createIndex5PKcPKiPKlPtS5_PlPii.uses_vcc, 1
	.set _Z19kernel_createIndex5PKcPKiPKlPtS5_PlPii.uses_flat_scratch, 0
	.set _Z19kernel_createIndex5PKcPKiPKlPtS5_PlPii.has_dyn_sized_stack, 0
	.set _Z19kernel_createIndex5PKcPKiPKlPtS5_PlPii.has_recursion, 0
	.set _Z19kernel_createIndex5PKcPKiPKlPtS5_PlPii.has_indirect_call, 0
	.section	.AMDGPU.csdata,"",@progbits
; Kernel info:
; codeLenInByte = 932
; TotalNumSgprs: 14
; NumVgprs: 28
; ScratchSize: 0
; MemoryBound: 0
; FloatMode: 240
; IeeeMode: 1
; LDSByteSize: 0 bytes/workgroup (compile time only)
; SGPRBlocks: 0
; VGPRBlocks: 1
; NumSGPRsForWavesPerEU: 14
; NumVGPRsForWavesPerEU: 28
; NamedBarCnt: 0
; Occupancy: 16
; WaveLimiterHint : 0
; COMPUTE_PGM_RSRC2:SCRATCH_EN: 0
; COMPUTE_PGM_RSRC2:USER_SGPR: 2
; COMPUTE_PGM_RSRC2:TRAP_HANDLER: 0
; COMPUTE_PGM_RSRC2:TGID_X_EN: 1
; COMPUTE_PGM_RSRC2:TGID_Y_EN: 0
; COMPUTE_PGM_RSRC2:TGID_Z_EN: 0
; COMPUTE_PGM_RSRC2:TIDIG_COMP_CNT: 0
	.text
	.protected	_Z19kernel_createIndex6PKcPKiPKlPtS5_PlPii ; -- Begin function _Z19kernel_createIndex6PKcPKiPKlPtS5_PlPii
	.globl	_Z19kernel_createIndex6PKcPKiPKlPtS5_PlPii
	.p2align	8
	.type	_Z19kernel_createIndex6PKcPKiPKlPtS5_PlPii,@function
_Z19kernel_createIndex6PKcPKiPKlPtS5_PlPii: ; @_Z19kernel_createIndex6PKcPKiPKlPtS5_PlPii
; %bb.0:
	s_clause 0x1
	s_load_b32 s2, s[0:1], 0x4c
	s_load_b32 s3, s[0:1], 0x38
	s_bfe_u32 s4, ttmp6, 0x4000c
	s_and_b32 s5, ttmp6, 15
	s_add_co_i32 s4, s4, 1
	s_getreg_b32 s6, hwreg(HW_REG_IB_STS2, 6, 4)
	s_mul_i32 s4, ttmp9, s4
	s_delay_alu instid0(SALU_CYCLE_1) | instskip(SKIP_4) | instid1(SALU_CYCLE_1)
	s_add_co_i32 s5, s5, s4
	s_wait_kmcnt 0x0
	s_and_b32 s2, s2, 0xffff
	s_cmp_eq_u32 s6, 0
	s_cselect_b32 s4, ttmp9, s5
	v_mad_u32 v4, s4, s2, v0
	s_mov_b32 s2, exec_lo
	s_delay_alu instid0(VALU_DEP_1)
	v_cmpx_gt_i32_e64 s3, v4
	s_cbranch_execz .LBB4_20
; %bb.1:
	s_load_b256 s[4:11], s[0:1], 0x0
	v_mov_b64_e32 v[6:7], 0
	v_dual_ashrrev_i32 v5, 31, v4 :: v_dual_mov_b32 v3, 0
	v_dual_mov_b32 v2, 0 :: v_dual_mov_b32 v1, 0
	v_mov_b32_e32 v0, 0
	s_mov_b32 s2, exec_lo
	s_wait_kmcnt 0x0
	global_load_b32 v10, v4, s[6:7] scale_offset
	s_wait_loadcnt 0x0
	v_cmpx_lt_i32_e32 0, v10
	s_cbranch_execz .LBB4_19
; %bb.2:
	v_lshl_add_u64 v[0:1], v[4:5], 3, s[8:9]
	v_dual_mov_b32 v16, 4 :: v_dual_mov_b32 v6, 0
	v_dual_mov_b32 v3, 0 :: v_dual_mov_b32 v17, 4
	global_load_b32 v8, v[0:1], off
	v_dual_mov_b32 v2, 0 :: v_dual_mov_b32 v15, 4
	s_wait_xcnt 0x0
	v_dual_mov_b32 v0, 0 :: v_dual_mov_b32 v1, 0
	v_dual_mov_b32 v18, 4 :: v_dual_mov_b32 v19, 4
	s_mov_b32 s3, 0
	s_wait_loadcnt 0x0
	v_dual_ashrrev_i32 v9, 31, v8 :: v_dual_add_nc_u32 v7, v10, v8
	s_delay_alu instid0(VALU_DEP_1)
	v_add_nc_u64_e32 v[10:11], s[4:5], v[8:9]
	v_lshl_add_u64 v[12:13], v[8:9], 1, s[10:11]
	v_mov_b32_e32 v9, 4
	s_branch .LBB4_5
.LBB4_3:                                ;   in Loop: Header=BB4_5 Depth=1
	s_or_b32 exec_lo, exec_lo, s5
.LBB4_4:                                ;   in Loop: Header=BB4_5 Depth=1
	s_delay_alu instid0(SALU_CYCLE_1)
	s_or_b32 exec_lo, exec_lo, s4
	v_lshlrev_b16 v20, 8, v18
	v_perm_b32 v16, v16, v17, 0xc0c0004
	v_perm_b32 v18, v18, v19, 0xc0c0004
	v_bfe_i32 v21, v19, 0, 8
	v_bfe_i32 v22, v14, 0, 8
	v_bitop3_b16 v20, v15, v20, 0xff bitop3:0xec
	v_perm_b32 v19, v14, v19, 0x5040100
	v_perm_b32 v17, v17, v15, 0xc0c0004
	v_lshlrev_b16 v15, 8, v15
	v_bfe_i32 v24, v9, 0, 8
	v_dual_lshlrev_b32 v23, 16, v20 :: v_dual_bitop2_b32 v25, 3, v9 bitop3:0x40
	v_bfe_i32 v20, v20, 0, 8
	v_max_i16 v21, v21, 3
	v_pk_lshlrev_b16 v19, 0x20004, v19
	s_delay_alu instid0(VALU_DEP_4) | instskip(NEXT) | instid1(VALU_DEP_4)
	v_dual_lshrrev_b32 v23, 24, v23 :: v_dual_bitop2_b32 v16, v16, v23 bitop3:0x54
	v_max_i16 v20, v20, 3
	v_max_i16 v22, v22, 3
	v_and_b32_e32 v15, 0x300, v15
	s_delay_alu instid0(VALU_DEP_4) | instskip(SKIP_3) | instid1(VALU_DEP_4)
	v_dual_lshrrev_b32 v16, 8, v16 :: v_dual_lshrrev_b32 v28, 8, v18
	v_bfe_i32 v26, v23, 0, 8
	v_lshlrev_b16 v23, 6, v23
	v_max_i16 v24, v24, 3
	v_bfe_i32 v27, v16, 0, 8
	v_and_b32_e32 v19, 0xc0030, v19
	v_max_i16 v26, v26, 3
	v_lshlrev_b16 v16, 10, v16
	v_add_nc_u16 v21, v21, v22
	v_max_i16 v27, v27, 3
	v_and_b32_e32 v22, 0xc0, v23
	v_add_nc_u16 v20, v20, v26
	v_bitop3_b16 v15, v16, v15, 0xc00 bitop3:0xec
	v_and_b32_e32 v16, 0xffff, v24
	v_and_b32_e32 v23, 0xffff, v27
	;; [unrolled: 1-line block ×4, first 2 shown]
	v_lshrrev_b32_e32 v24, 16, v19
	v_bitop3_b16 v15, v15, v19, v22 bitop3:0xfe
	v_dual_lshrrev_b32 v19, 8, v17 :: v_dual_sub_nc_u32 v16, 0, v16
	s_delay_alu instid0(VALU_DEP_4) | instskip(SKIP_2) | instid1(VALU_DEP_4)
	v_add_nc_u32_e32 v20, v23, v20
	v_lshlrev_b16 v22, 8, v28
	v_add_nc_u64_e32 v[10:11], 1, v[10:11]
	v_lshlrev_b16 v19, 8, v19
	v_add_nc_u32_e32 v8, 1, v8
	v_add3_u32 v20, v20, v21, 0xffffffee
	v_bitop3_b16 v21, v15, v25, v24 bitop3:0xfe
	v_bitop3_b16 v15, v18, v22, 0xff bitop3:0xec
	v_and_b32_e32 v18, 0xffff, v19
	s_delay_alu instid0(VALU_DEP_4) | instskip(NEXT) | instid1(VALU_DEP_3)
	v_cmp_eq_u32_e32 vcc_lo, v20, v16
	v_dual_lshlrev_b32 v20, 16, v15 :: v_dual_cndmask_b32 v16, -1, v21, vcc_lo
	v_add_co_ci_u32_e64 v6, null, 0, v6, vcc_lo
	v_cmp_ge_i32_e32 vcc_lo, v8, v7
	global_store_b16 v[12:13], v16, off
	s_wait_xcnt 0x0
	v_bitop3_b16 v16, v17, v19, 0xff bitop3:0xec
	v_or_b32_e32 v17, v18, v20
	v_add_nc_u64_e32 v[12:13], 2, v[12:13]
	v_mov_b32_e32 v19, v14
	s_or_b32 s3, vcc_lo, s3
	s_delay_alu instid0(VALU_DEP_3)
	v_dual_lshrrev_b32 v17, 8, v17 :: v_dual_lshrrev_b32 v18, 24, v20
	s_and_not1_b32 exec_lo, exec_lo, s3
	s_cbranch_execz .LBB4_18
.LBB4_5:                                ; =>This Inner Loop Header: Depth=1
	s_delay_alu instid0(VALU_DEP_1)
	v_mov_b32_e32 v14, v9
	global_load_u8 v9, v[10:11], off
	s_mov_b32 s4, exec_lo
	s_wait_loadcnt 0x0
	s_wait_xcnt 0x0
	v_cmpx_lt_i16_e32 1, v9
	s_xor_b32 s4, exec_lo, s4
	s_cbranch_execz .LBB4_13
; %bb.6:                                ;   in Loop: Header=BB4_5 Depth=1
	s_mov_b32 s5, exec_lo
	v_cmpx_lt_i16_e32 2, v9
	s_xor_b32 s5, exec_lo, s5
	s_cbranch_execz .LBB4_10
; %bb.7:                                ;   in Loop: Header=BB4_5 Depth=1
	s_mov_b32 s6, exec_lo
	v_cmpx_eq_u16_e32 3, v9
; %bb.8:                                ;   in Loop: Header=BB4_5 Depth=1
	v_add_nc_u32_e32 v3, 1, v3
; %bb.9:                                ;   in Loop: Header=BB4_5 Depth=1
	s_or_b32 exec_lo, exec_lo, s6
.LBB4_10:                               ;   in Loop: Header=BB4_5 Depth=1
	s_and_not1_saveexec_b32 s5, s5
; %bb.11:                               ;   in Loop: Header=BB4_5 Depth=1
	v_add_nc_u32_e32 v2, 1, v2
; %bb.12:                               ;   in Loop: Header=BB4_5 Depth=1
	s_or_b32 exec_lo, exec_lo, s5
.LBB4_13:                               ;   in Loop: Header=BB4_5 Depth=1
	s_and_not1_saveexec_b32 s4, s4
	s_cbranch_execz .LBB4_4
; %bb.14:                               ;   in Loop: Header=BB4_5 Depth=1
	s_mov_b32 s5, exec_lo
	v_cmpx_lt_i16_e32 0, v9
	s_xor_b32 s5, exec_lo, s5
; %bb.15:                               ;   in Loop: Header=BB4_5 Depth=1
	v_add_nc_u32_e32 v1, 1, v1
; %bb.16:                               ;   in Loop: Header=BB4_5 Depth=1
	s_and_not1_saveexec_b32 s5, s5
	s_cbranch_execz .LBB4_3
; %bb.17:                               ;   in Loop: Header=BB4_5 Depth=1
	v_add_nc_u32_e32 v0, 1, v0
	s_branch .LBB4_3
.LBB4_18:
	s_or_b32 exec_lo, exec_lo, s3
	v_mov_b32_e32 v7, 0
.LBB4_19:
	s_or_b32 exec_lo, exec_lo, s2
	s_load_b128 s[4:7], s[0:1], 0x28
	v_lshlrev_b32_e32 v8, 2, v4
	s_delay_alu instid0(VALU_DEP_1) | instskip(SKIP_2) | instid1(VALU_DEP_2)
	v_ashrrev_i32_e32 v9, 31, v8
	s_wait_kmcnt 0x0
	v_lshl_add_u64 v[4:5], v[4:5], 3, s[4:5]
	v_lshl_add_u64 v[8:9], v[8:9], 2, s[6:7]
	global_store_b64 v[4:5], v[6:7], off
	global_store_b128 v[8:9], v[0:3], off
.LBB4_20:
	s_endpgm
	.section	.rodata,"a",@progbits
	.p2align	6, 0x0
	.amdhsa_kernel _Z19kernel_createIndex6PKcPKiPKlPtS5_PlPii
		.amdhsa_group_segment_fixed_size 0
		.amdhsa_private_segment_fixed_size 0
		.amdhsa_kernarg_size 320
		.amdhsa_user_sgpr_count 2
		.amdhsa_user_sgpr_dispatch_ptr 0
		.amdhsa_user_sgpr_queue_ptr 0
		.amdhsa_user_sgpr_kernarg_segment_ptr 1
		.amdhsa_user_sgpr_dispatch_id 0
		.amdhsa_user_sgpr_kernarg_preload_length 0
		.amdhsa_user_sgpr_kernarg_preload_offset 0
		.amdhsa_user_sgpr_private_segment_size 0
		.amdhsa_wavefront_size32 1
		.amdhsa_uses_dynamic_stack 0
		.amdhsa_enable_private_segment 0
		.amdhsa_system_sgpr_workgroup_id_x 1
		.amdhsa_system_sgpr_workgroup_id_y 0
		.amdhsa_system_sgpr_workgroup_id_z 0
		.amdhsa_system_sgpr_workgroup_info 0
		.amdhsa_system_vgpr_workitem_id 0
		.amdhsa_next_free_vgpr 29
		.amdhsa_next_free_sgpr 12
		.amdhsa_named_barrier_count 0
		.amdhsa_reserve_vcc 1
		.amdhsa_float_round_mode_32 0
		.amdhsa_float_round_mode_16_64 0
		.amdhsa_float_denorm_mode_32 3
		.amdhsa_float_denorm_mode_16_64 3
		.amdhsa_fp16_overflow 0
		.amdhsa_memory_ordered 1
		.amdhsa_forward_progress 1
		.amdhsa_inst_pref_size 9
		.amdhsa_round_robin_scheduling 0
		.amdhsa_exception_fp_ieee_invalid_op 0
		.amdhsa_exception_fp_denorm_src 0
		.amdhsa_exception_fp_ieee_div_zero 0
		.amdhsa_exception_fp_ieee_overflow 0
		.amdhsa_exception_fp_ieee_underflow 0
		.amdhsa_exception_fp_ieee_inexact 0
		.amdhsa_exception_int_div_zero 0
	.end_amdhsa_kernel
	.text
.Lfunc_end4:
	.size	_Z19kernel_createIndex6PKcPKiPKlPtS5_PlPii, .Lfunc_end4-_Z19kernel_createIndex6PKcPKiPKlPtS5_PlPii
                                        ; -- End function
	.set _Z19kernel_createIndex6PKcPKiPKlPtS5_PlPii.num_vgpr, 29
	.set _Z19kernel_createIndex6PKcPKiPKlPtS5_PlPii.num_agpr, 0
	.set _Z19kernel_createIndex6PKcPKiPKlPtS5_PlPii.numbered_sgpr, 12
	.set _Z19kernel_createIndex6PKcPKiPKlPtS5_PlPii.num_named_barrier, 0
	.set _Z19kernel_createIndex6PKcPKiPKlPtS5_PlPii.private_seg_size, 0
	.set _Z19kernel_createIndex6PKcPKiPKlPtS5_PlPii.uses_vcc, 1
	.set _Z19kernel_createIndex6PKcPKiPKlPtS5_PlPii.uses_flat_scratch, 0
	.set _Z19kernel_createIndex6PKcPKiPKlPtS5_PlPii.has_dyn_sized_stack, 0
	.set _Z19kernel_createIndex6PKcPKiPKlPtS5_PlPii.has_recursion, 0
	.set _Z19kernel_createIndex6PKcPKiPKlPtS5_PlPii.has_indirect_call, 0
	.section	.AMDGPU.csdata,"",@progbits
; Kernel info:
; codeLenInByte = 1028
; TotalNumSgprs: 14
; NumVgprs: 29
; ScratchSize: 0
; MemoryBound: 0
; FloatMode: 240
; IeeeMode: 1
; LDSByteSize: 0 bytes/workgroup (compile time only)
; SGPRBlocks: 0
; VGPRBlocks: 1
; NumSGPRsForWavesPerEU: 14
; NumVGPRsForWavesPerEU: 29
; NamedBarCnt: 0
; Occupancy: 16
; WaveLimiterHint : 0
; COMPUTE_PGM_RSRC2:SCRATCH_EN: 0
; COMPUTE_PGM_RSRC2:USER_SGPR: 2
; COMPUTE_PGM_RSRC2:TRAP_HANDLER: 0
; COMPUTE_PGM_RSRC2:TGID_X_EN: 1
; COMPUTE_PGM_RSRC2:TGID_Y_EN: 0
; COMPUTE_PGM_RSRC2:TGID_Z_EN: 0
; COMPUTE_PGM_RSRC2:TIDIG_COMP_CNT: 0
	.text
	.protected	_Z19kernel_createIndex7PKcPKiPKlPtS5_PlPii ; -- Begin function _Z19kernel_createIndex7PKcPKiPKlPtS5_PlPii
	.globl	_Z19kernel_createIndex7PKcPKiPKlPtS5_PlPii
	.p2align	8
	.type	_Z19kernel_createIndex7PKcPKiPKlPtS5_PlPii,@function
_Z19kernel_createIndex7PKcPKiPKlPtS5_PlPii: ; @_Z19kernel_createIndex7PKcPKiPKlPtS5_PlPii
; %bb.0:
	s_clause 0x1
	s_load_b32 s2, s[0:1], 0x4c
	s_load_b32 s3, s[0:1], 0x38
	s_bfe_u32 s4, ttmp6, 0x4000c
	s_and_b32 s5, ttmp6, 15
	s_add_co_i32 s4, s4, 1
	s_getreg_b32 s6, hwreg(HW_REG_IB_STS2, 6, 4)
	s_mul_i32 s4, ttmp9, s4
	s_delay_alu instid0(SALU_CYCLE_1) | instskip(SKIP_4) | instid1(SALU_CYCLE_1)
	s_add_co_i32 s5, s5, s4
	s_wait_kmcnt 0x0
	s_and_b32 s2, s2, 0xffff
	s_cmp_eq_u32 s6, 0
	s_cselect_b32 s4, ttmp9, s5
	v_mad_u32 v4, s4, s2, v0
	s_mov_b32 s2, exec_lo
	s_delay_alu instid0(VALU_DEP_1)
	v_cmpx_gt_i32_e64 s3, v4
	s_cbranch_execz .LBB5_20
; %bb.1:
	s_load_b256 s[4:11], s[0:1], 0x0
	v_mov_b64_e32 v[6:7], 0
	v_dual_ashrrev_i32 v5, 31, v4 :: v_dual_mov_b32 v3, 0
	v_dual_mov_b32 v2, 0 :: v_dual_mov_b32 v1, 0
	v_mov_b32_e32 v0, 0
	s_mov_b32 s2, exec_lo
	s_wait_kmcnt 0x0
	global_load_b32 v10, v4, s[6:7] scale_offset
	s_wait_loadcnt 0x0
	v_cmpx_lt_i32_e32 0, v10
	s_cbranch_execz .LBB5_19
; %bb.2:
	v_lshl_add_u64 v[0:1], v[4:5], 3, s[8:9]
	v_dual_mov_b32 v17, 4 :: v_dual_mov_b32 v6, 0
	v_dual_mov_b32 v2, 0 :: v_dual_mov_b32 v3, 0
	global_load_b32 v8, v[0:1], off
	s_wait_xcnt 0x0
	v_dual_mov_b32 v0, 0 :: v_dual_mov_b32 v1, 0
	v_dual_mov_b32 v16, 4 :: v_dual_mov_b32 v19, 4
	s_mov_b32 s3, 0
	v_dual_mov_b32 v18, 4 :: v_dual_mov_b32 v20, 4
	s_wait_loadcnt 0x0
	v_dual_mov_b32 v14, 4 :: v_dual_ashrrev_i32 v9, 31, v8
	v_add_nc_u32_e32 v7, v10, v8
	s_delay_alu instid0(VALU_DEP_2)
	v_add_nc_u64_e32 v[10:11], s[4:5], v[8:9]
	v_lshl_add_u64 v[12:13], v[8:9], 1, s[10:11]
	v_mov_b32_e32 v9, 4
	s_branch .LBB5_5
.LBB5_3:                                ;   in Loop: Header=BB5_5 Depth=1
	s_or_b32 exec_lo, exec_lo, s5
.LBB5_4:                                ;   in Loop: Header=BB5_5 Depth=1
	s_delay_alu instid0(SALU_CYCLE_1)
	s_or_b32 exec_lo, exec_lo, s4
	v_lshlrev_b16 v21, 8, v19
	v_bfe_i32 v22, v20, 0, 8
	v_perm_b32 v19, v19, v20, 0xc0c0004
	v_perm_b32 v20, v9, v20, 0x5040100
	v_bfe_i32 v23, v9, 0, 8
	v_bitop3_b16 v21, v16, v21, 0xff bitop3:0xec
	v_perm_b32 v17, v17, v18, 0xc0c0004
	v_max_i16 v22, v22, 3
	v_pk_lshlrev_b16 v20, 0x40006, v20
	v_max_i16 v23, v23, 3
	v_lshlrev_b16 v27, 2, v15
	v_perm_b32 v18, v18, v16, 0xc0c0004
	v_lshlrev_b16 v16, 10, v16
	v_and_b32_e32 v20, 0x3000c0, v20
	v_lshlrev_b32_e32 v26, 16, v21
	v_add_nc_u16 v22, v22, v23
	v_bfe_i32 v21, v21, 0, 8
	v_and_b32_e32 v16, 0xc00, v16
	s_delay_alu instid0(VALU_DEP_4)
	v_dual_lshrrev_b32 v23, 16, v20 :: v_dual_bitop2_b32 v17, v17, v26 bitop3:0x54
	v_lshrrev_b32_e32 v26, 24, v26
	v_bfe_i32 v24, v15, 0, 8
	v_max_i16 v21, v21, 3
	v_bfe_i32 v25, v14, 0, 8
	v_lshrrev_b32_e32 v17, 8, v17
	v_lshlrev_b16 v28, 8, v26
	v_bfe_i32 v26, v26, 0, 8
	v_max_i16 v24, v24, 3
	v_and_b32_e32 v22, 0xffff, v22
	v_lshlrev_b16 v29, 12, v17
	v_and_b32_e32 v28, 0x300, v28
	v_max_i16 v26, v26, 3
	v_and_b32_e32 v24, 0xffff, v24
	v_add_nc_u64_e32 v[10:11], 1, v[10:11]
	v_and_b32_e32 v29, 0x3000, v29
	s_delay_alu instid0(VALU_DEP_4) | instskip(NEXT) | instid1(VALU_DEP_2)
	v_add_nc_u16 v21, v21, v26
	v_bitop3_b16 v16, v29, v28, v16 bitop3:0xfe
	s_delay_alu instid0(VALU_DEP_2) | instskip(NEXT) | instid1(VALU_DEP_2)
	v_and_b32_e32 v21, 0xffff, v21
	v_bitop3_b16 v16, v16, v23, v20 bitop3:0xfe
	v_and_b32_e32 v23, 12, v27
	v_bfe_i32 v17, v17, 0, 8
	v_max_i16 v20, v25, 3
	s_delay_alu instid0(VALU_DEP_2) | instskip(NEXT) | instid1(VALU_DEP_2)
	v_max_i16 v17, v17, 3
	v_and_b32_e32 v20, 0xffff, v20
	s_delay_alu instid0(VALU_DEP_2) | instskip(NEXT) | instid1(VALU_DEP_2)
	v_and_b32_e32 v17, 0xffff, v17
	v_dual_lshrrev_b32 v25, 8, v19 :: v_dual_sub_nc_u32 v20, 0, v20
	s_delay_alu instid0(VALU_DEP_2) | instskip(SKIP_1) | instid1(VALU_DEP_3)
	v_dual_add_nc_u32 v17, v17, v21 :: v_dual_add_nc_u32 v21, v22, v24
	v_and_b32_e32 v22, 3, v14
	v_lshlrev_b16 v24, 8, v25
	v_lshrrev_b32_e32 v25, 8, v18
	s_delay_alu instid0(VALU_DEP_4) | instskip(NEXT) | instid1(VALU_DEP_4)
	v_add3_u32 v17, v17, v21, 0xffffffeb
	v_bitop3_b16 v21, v16, v22, v23 bitop3:0xfe
	s_delay_alu instid0(VALU_DEP_4) | instskip(NEXT) | instid1(VALU_DEP_4)
	v_bitop3_b16 v16, v19, v24, 0xff bitop3:0xec
	v_lshlrev_b16 v19, 8, v25
	s_delay_alu instid0(VALU_DEP_4) | instskip(NEXT) | instid1(VALU_DEP_3)
	v_cmp_eq_u32_e32 vcc_lo, v17, v20
	v_dual_cndmask_b32 v17, -1, v21 :: v_dual_lshlrev_b32 v20, 16, v16
	s_delay_alu instid0(VALU_DEP_3)
	v_and_b32_e32 v21, 0xffff, v19
	v_add_co_ci_u32_e64 v6, null, 0, v6, vcc_lo
	global_store_b16 v[12:13], v17, off
	v_or_b32_e32 v21, v21, v20
	s_wait_xcnt 0x0
	v_bitop3_b16 v17, v18, v19, 0xff bitop3:0xec
	v_lshrrev_b32_e32 v19, 24, v20
	v_add_nc_u32_e32 v8, 1, v8
	v_add_nc_u64_e32 v[12:13], 2, v[12:13]
	v_dual_lshrrev_b32 v18, 8, v21 :: v_dual_mov_b32 v20, v9
	v_mov_b32_e32 v9, v15
	s_delay_alu instid0(VALU_DEP_4) | instskip(SKIP_1) | instid1(SALU_CYCLE_1)
	v_cmp_ge_i32_e32 vcc_lo, v8, v7
	s_or_b32 s3, vcc_lo, s3
	s_and_not1_b32 exec_lo, exec_lo, s3
	s_cbranch_execz .LBB5_18
.LBB5_5:                                ; =>This Inner Loop Header: Depth=1
	v_mov_b32_e32 v15, v14
	global_load_u8 v14, v[10:11], off
	s_mov_b32 s4, exec_lo
	s_wait_loadcnt 0x0
	s_wait_xcnt 0x0
	v_cmpx_lt_i16_e32 1, v14
	s_xor_b32 s4, exec_lo, s4
	s_cbranch_execz .LBB5_13
; %bb.6:                                ;   in Loop: Header=BB5_5 Depth=1
	s_mov_b32 s5, exec_lo
	v_cmpx_lt_i16_e32 2, v14
	s_xor_b32 s5, exec_lo, s5
	s_cbranch_execz .LBB5_10
; %bb.7:                                ;   in Loop: Header=BB5_5 Depth=1
	s_mov_b32 s6, exec_lo
	v_cmpx_eq_u16_e32 3, v14
; %bb.8:                                ;   in Loop: Header=BB5_5 Depth=1
	v_add_nc_u32_e32 v3, 1, v3
; %bb.9:                                ;   in Loop: Header=BB5_5 Depth=1
	s_or_b32 exec_lo, exec_lo, s6
.LBB5_10:                               ;   in Loop: Header=BB5_5 Depth=1
	s_and_not1_saveexec_b32 s5, s5
; %bb.11:                               ;   in Loop: Header=BB5_5 Depth=1
	v_add_nc_u32_e32 v2, 1, v2
; %bb.12:                               ;   in Loop: Header=BB5_5 Depth=1
	s_or_b32 exec_lo, exec_lo, s5
.LBB5_13:                               ;   in Loop: Header=BB5_5 Depth=1
	s_and_not1_saveexec_b32 s4, s4
	s_cbranch_execz .LBB5_4
; %bb.14:                               ;   in Loop: Header=BB5_5 Depth=1
	s_mov_b32 s5, exec_lo
	v_cmpx_lt_i16_e32 0, v14
	s_xor_b32 s5, exec_lo, s5
; %bb.15:                               ;   in Loop: Header=BB5_5 Depth=1
	v_add_nc_u32_e32 v1, 1, v1
; %bb.16:                               ;   in Loop: Header=BB5_5 Depth=1
	s_and_not1_saveexec_b32 s5, s5
	s_cbranch_execz .LBB5_3
; %bb.17:                               ;   in Loop: Header=BB5_5 Depth=1
	v_add_nc_u32_e32 v0, 1, v0
	s_branch .LBB5_3
.LBB5_18:
	s_or_b32 exec_lo, exec_lo, s3
	v_mov_b32_e32 v7, 0
.LBB5_19:
	s_or_b32 exec_lo, exec_lo, s2
	s_load_b128 s[4:7], s[0:1], 0x28
	v_lshlrev_b32_e32 v8, 2, v4
	s_delay_alu instid0(VALU_DEP_1) | instskip(SKIP_2) | instid1(VALU_DEP_2)
	v_ashrrev_i32_e32 v9, 31, v8
	s_wait_kmcnt 0x0
	v_lshl_add_u64 v[4:5], v[4:5], 3, s[4:5]
	v_lshl_add_u64 v[8:9], v[8:9], 2, s[6:7]
	global_store_b64 v[4:5], v[6:7], off
	global_store_b128 v[8:9], v[0:3], off
.LBB5_20:
	s_endpgm
	.section	.rodata,"a",@progbits
	.p2align	6, 0x0
	.amdhsa_kernel _Z19kernel_createIndex7PKcPKiPKlPtS5_PlPii
		.amdhsa_group_segment_fixed_size 0
		.amdhsa_private_segment_fixed_size 0
		.amdhsa_kernarg_size 320
		.amdhsa_user_sgpr_count 2
		.amdhsa_user_sgpr_dispatch_ptr 0
		.amdhsa_user_sgpr_queue_ptr 0
		.amdhsa_user_sgpr_kernarg_segment_ptr 1
		.amdhsa_user_sgpr_dispatch_id 0
		.amdhsa_user_sgpr_kernarg_preload_length 0
		.amdhsa_user_sgpr_kernarg_preload_offset 0
		.amdhsa_user_sgpr_private_segment_size 0
		.amdhsa_wavefront_size32 1
		.amdhsa_uses_dynamic_stack 0
		.amdhsa_enable_private_segment 0
		.amdhsa_system_sgpr_workgroup_id_x 1
		.amdhsa_system_sgpr_workgroup_id_y 0
		.amdhsa_system_sgpr_workgroup_id_z 0
		.amdhsa_system_sgpr_workgroup_info 0
		.amdhsa_system_vgpr_workitem_id 0
		.amdhsa_next_free_vgpr 30
		.amdhsa_next_free_sgpr 12
		.amdhsa_named_barrier_count 0
		.amdhsa_reserve_vcc 1
		.amdhsa_float_round_mode_32 0
		.amdhsa_float_round_mode_16_64 0
		.amdhsa_float_denorm_mode_32 3
		.amdhsa_float_denorm_mode_16_64 3
		.amdhsa_fp16_overflow 0
		.amdhsa_memory_ordered 1
		.amdhsa_forward_progress 1
		.amdhsa_inst_pref_size 9
		.amdhsa_round_robin_scheduling 0
		.amdhsa_exception_fp_ieee_invalid_op 0
		.amdhsa_exception_fp_denorm_src 0
		.amdhsa_exception_fp_ieee_div_zero 0
		.amdhsa_exception_fp_ieee_overflow 0
		.amdhsa_exception_fp_ieee_underflow 0
		.amdhsa_exception_fp_ieee_inexact 0
		.amdhsa_exception_int_div_zero 0
	.end_amdhsa_kernel
	.text
.Lfunc_end5:
	.size	_Z19kernel_createIndex7PKcPKiPKlPtS5_PlPii, .Lfunc_end5-_Z19kernel_createIndex7PKcPKiPKlPtS5_PlPii
                                        ; -- End function
	.set _Z19kernel_createIndex7PKcPKiPKlPtS5_PlPii.num_vgpr, 30
	.set _Z19kernel_createIndex7PKcPKiPKlPtS5_PlPii.num_agpr, 0
	.set _Z19kernel_createIndex7PKcPKiPKlPtS5_PlPii.numbered_sgpr, 12
	.set _Z19kernel_createIndex7PKcPKiPKlPtS5_PlPii.num_named_barrier, 0
	.set _Z19kernel_createIndex7PKcPKiPKlPtS5_PlPii.private_seg_size, 0
	.set _Z19kernel_createIndex7PKcPKiPKlPtS5_PlPii.uses_vcc, 1
	.set _Z19kernel_createIndex7PKcPKiPKlPtS5_PlPii.uses_flat_scratch, 0
	.set _Z19kernel_createIndex7PKcPKiPKlPtS5_PlPii.has_dyn_sized_stack, 0
	.set _Z19kernel_createIndex7PKcPKiPKlPtS5_PlPii.has_recursion, 0
	.set _Z19kernel_createIndex7PKcPKiPKlPtS5_PlPii.has_indirect_call, 0
	.section	.AMDGPU.csdata,"",@progbits
; Kernel info:
; codeLenInByte = 1084
; TotalNumSgprs: 14
; NumVgprs: 30
; ScratchSize: 0
; MemoryBound: 0
; FloatMode: 240
; IeeeMode: 1
; LDSByteSize: 0 bytes/workgroup (compile time only)
; SGPRBlocks: 0
; VGPRBlocks: 1
; NumSGPRsForWavesPerEU: 14
; NumVGPRsForWavesPerEU: 30
; NamedBarCnt: 0
; Occupancy: 16
; WaveLimiterHint : 0
; COMPUTE_PGM_RSRC2:SCRATCH_EN: 0
; COMPUTE_PGM_RSRC2:USER_SGPR: 2
; COMPUTE_PGM_RSRC2:TRAP_HANDLER: 0
; COMPUTE_PGM_RSRC2:TGID_X_EN: 1
; COMPUTE_PGM_RSRC2:TGID_Y_EN: 0
; COMPUTE_PGM_RSRC2:TGID_Z_EN: 0
; COMPUTE_PGM_RSRC2:TIDIG_COMP_CNT: 0
	.text
	.protected	_Z19kernel_createCutofffiPKiPlPii ; -- Begin function _Z19kernel_createCutofffiPKiPlPii
	.globl	_Z19kernel_createCutofffiPKiPlPii
	.p2align	8
	.type	_Z19kernel_createCutofffiPKiPlPii,@function
_Z19kernel_createCutofffiPKiPlPii:      ; @_Z19kernel_createCutofffiPKiPlPii
; %bb.0:
	s_clause 0x1
	s_load_b32 s2, s[0:1], 0x34
	s_load_b32 s3, s[0:1], 0x20
	s_bfe_u32 s4, ttmp6, 0x4000c
	s_and_b32 s5, ttmp6, 15
	s_add_co_i32 s4, s4, 1
	s_getreg_b32 s6, hwreg(HW_REG_IB_STS2, 6, 4)
	s_mul_i32 s4, ttmp9, s4
	s_delay_alu instid0(SALU_CYCLE_1) | instskip(SKIP_4) | instid1(SALU_CYCLE_1)
	s_add_co_i32 s5, s5, s4
	s_wait_kmcnt 0x0
	s_and_b32 s2, s2, 0xffff
	s_cmp_eq_u32 s6, 0
	s_cselect_b32 s4, ttmp9, s5
	v_mad_u32 v0, s4, s2, v0
	s_mov_b32 s2, exec_lo
	s_delay_alu instid0(VALU_DEP_1)
	v_cmpx_gt_i32_e64 s3, v0
	s_cbranch_execz .LBB6_2
; %bb.1:
	s_clause 0x1
	s_load_b128 s[4:7], s[0:1], 0x0
	s_load_b64 s[2:3], s[0:1], 0x18
	s_wait_kmcnt 0x0
	global_load_b32 v1, v0, s[6:7] scale_offset
	s_sub_f32 s0, 1.0, s4
	s_wait_loadcnt 0x0
	v_cvt_f32_i32_e32 v2, v1
	s_delay_alu instid0(VALU_DEP_1) | instid1(SALU_CYCLE_1)
	v_mul_f32_e32 v2, s0, v2
	s_cvt_f32_i32 s0, s5
	s_delay_alu instid0(VALU_DEP_1) | instid1(SALU_CYCLE_3)
	v_mul_f32_e32 v2, s0, v2
	s_delay_alu instid0(VALU_DEP_1) | instskip(NEXT) | instid1(VALU_DEP_1)
	v_ceil_f32_e32 v2, v2
	v_cvt_i32_f32_e32 v2, v2
	s_delay_alu instid0(VALU_DEP_1) | instskip(NEXT) | instid1(VALU_DEP_1)
	v_add_nc_u32_e32 v2, s5, v2
	v_sub_nc_u32_e32 v1, v1, v2
	s_delay_alu instid0(VALU_DEP_1)
	v_add_nc_u32_e32 v1, 1, v1
	global_store_b32 v0, v1, s[2:3] scale_offset
.LBB6_2:
	s_endpgm
	.section	.rodata,"a",@progbits
	.p2align	6, 0x0
	.amdhsa_kernel _Z19kernel_createCutofffiPKiPlPii
		.amdhsa_group_segment_fixed_size 0
		.amdhsa_private_segment_fixed_size 0
		.amdhsa_kernarg_size 296
		.amdhsa_user_sgpr_count 2
		.amdhsa_user_sgpr_dispatch_ptr 0
		.amdhsa_user_sgpr_queue_ptr 0
		.amdhsa_user_sgpr_kernarg_segment_ptr 1
		.amdhsa_user_sgpr_dispatch_id 0
		.amdhsa_user_sgpr_kernarg_preload_length 0
		.amdhsa_user_sgpr_kernarg_preload_offset 0
		.amdhsa_user_sgpr_private_segment_size 0
		.amdhsa_wavefront_size32 1
		.amdhsa_uses_dynamic_stack 0
		.amdhsa_enable_private_segment 0
		.amdhsa_system_sgpr_workgroup_id_x 1
		.amdhsa_system_sgpr_workgroup_id_y 0
		.amdhsa_system_sgpr_workgroup_id_z 0
		.amdhsa_system_sgpr_workgroup_info 0
		.amdhsa_system_vgpr_workitem_id 0
		.amdhsa_next_free_vgpr 3
		.amdhsa_next_free_sgpr 8
		.amdhsa_named_barrier_count 0
		.amdhsa_reserve_vcc 0
		.amdhsa_float_round_mode_32 0
		.amdhsa_float_round_mode_16_64 0
		.amdhsa_float_denorm_mode_32 3
		.amdhsa_float_denorm_mode_16_64 3
		.amdhsa_fp16_overflow 0
		.amdhsa_memory_ordered 1
		.amdhsa_forward_progress 1
		.amdhsa_inst_pref_size 2
		.amdhsa_round_robin_scheduling 0
		.amdhsa_exception_fp_ieee_invalid_op 0
		.amdhsa_exception_fp_denorm_src 0
		.amdhsa_exception_fp_ieee_div_zero 0
		.amdhsa_exception_fp_ieee_overflow 0
		.amdhsa_exception_fp_ieee_underflow 0
		.amdhsa_exception_fp_ieee_inexact 0
		.amdhsa_exception_int_div_zero 0
	.end_amdhsa_kernel
	.text
.Lfunc_end6:
	.size	_Z19kernel_createCutofffiPKiPlPii, .Lfunc_end6-_Z19kernel_createCutofffiPKiPlPii
                                        ; -- End function
	.set _Z19kernel_createCutofffiPKiPlPii.num_vgpr, 3
	.set _Z19kernel_createCutofffiPKiPlPii.num_agpr, 0
	.set _Z19kernel_createCutofffiPKiPlPii.numbered_sgpr, 8
	.set _Z19kernel_createCutofffiPKiPlPii.num_named_barrier, 0
	.set _Z19kernel_createCutofffiPKiPlPii.private_seg_size, 0
	.set _Z19kernel_createCutofffiPKiPlPii.uses_vcc, 0
	.set _Z19kernel_createCutofffiPKiPlPii.uses_flat_scratch, 0
	.set _Z19kernel_createCutofffiPKiPlPii.has_dyn_sized_stack, 0
	.set _Z19kernel_createCutofffiPKiPlPii.has_recursion, 0
	.set _Z19kernel_createCutofffiPKiPlPii.has_indirect_call, 0
	.section	.AMDGPU.csdata,"",@progbits
; Kernel info:
; codeLenInByte = 216
; TotalNumSgprs: 8
; NumVgprs: 3
; ScratchSize: 0
; MemoryBound: 0
; FloatMode: 240
; IeeeMode: 1
; LDSByteSize: 0 bytes/workgroup (compile time only)
; SGPRBlocks: 0
; VGPRBlocks: 0
; NumSGPRsForWavesPerEU: 8
; NumVGPRsForWavesPerEU: 3
; NamedBarCnt: 0
; Occupancy: 16
; WaveLimiterHint : 0
; COMPUTE_PGM_RSRC2:SCRATCH_EN: 0
; COMPUTE_PGM_RSRC2:USER_SGPR: 2
; COMPUTE_PGM_RSRC2:TRAP_HANDLER: 0
; COMPUTE_PGM_RSRC2:TGID_X_EN: 1
; COMPUTE_PGM_RSRC2:TGID_Y_EN: 0
; COMPUTE_PGM_RSRC2:TGID_Z_EN: 0
; COMPUTE_PGM_RSRC2:TIDIG_COMP_CNT: 0
	.text
	.protected	_Z17kernel_mergeIndexPKlPKtPtS0_i ; -- Begin function _Z17kernel_mergeIndexPKlPKtPtS0_i
	.globl	_Z17kernel_mergeIndexPKlPKtPtS0_i
	.p2align	8
	.type	_Z17kernel_mergeIndexPKlPKtPtS0_i,@function
_Z17kernel_mergeIndexPKlPKtPtS0_i:      ; @_Z17kernel_mergeIndexPKlPKtPtS0_i
; %bb.0:
	s_clause 0x1
	s_load_b32 s2, s[0:1], 0x34
	s_load_b32 s3, s[0:1], 0x20
	s_bfe_u32 s4, ttmp6, 0x4000c
	s_and_b32 s5, ttmp6, 15
	s_add_co_i32 s4, s4, 1
	s_getreg_b32 s6, hwreg(HW_REG_IB_STS2, 6, 4)
	s_mul_i32 s4, ttmp9, s4
	s_delay_alu instid0(SALU_CYCLE_1) | instskip(SKIP_4) | instid1(SALU_CYCLE_1)
	s_add_co_i32 s5, s5, s4
	s_wait_kmcnt 0x0
	s_and_b32 s2, s2, 0xffff
	s_cmp_eq_u32 s6, 0
	s_cselect_b32 s4, ttmp9, s5
	v_mad_u32 v0, s4, s2, v0
	s_mov_b32 s2, exec_lo
	s_delay_alu instid0(VALU_DEP_1)
	v_cmpx_gt_i32_e64 s3, v0
	s_cbranch_execz .LBB7_6
; %bb.1:
	s_load_b256 s[4:11], s[0:1], 0x0
	s_wait_xcnt 0x0
	s_mov_b32 s1, exec_lo
	s_wait_kmcnt 0x0
	s_clause 0x1
	global_load_b64 v[2:3], v0, s[4:5] scale_offset
	global_load_b64 v[4:5], v0, s[10:11] scale_offset
	v_mov_b32_e32 v6, 1
	s_wait_loadcnt 0x0
	v_add_nc_u64_e32 v[0:1], v[4:5], v[2:3]
	v_add_nc_u32_e32 v1, 1, v2
	s_delay_alu instid0(VALU_DEP_1)
	v_cmpx_lt_i32_e64 v1, v0
	s_cbranch_execz .LBB7_5
; %bb.2:
	v_dual_mov_b32 v4, 0 :: v_dual_mov_b32 v5, v2
	v_dual_mov_b32 v6, 1 :: v_dual_ashrrev_i32 v3, 31, v2
	s_mov_b32 s2, 0
	s_delay_alu instid0(VALU_DEP_2) | instskip(NEXT) | instid1(VALU_DEP_2)
	v_ashrrev_i64 v[4:5], 31, v[4:5]
	v_lshlrev_b64_e32 v[2:3], 1, v[2:3]
	s_delay_alu instid0(VALU_DEP_2) | instskip(SKIP_4) | instid1(VALU_DEP_2)
	v_add_nc_u64_e32 v[4:5], s[6:7], v[4:5]
	global_load_u16 v7, v[4:5], off
	s_wait_xcnt 0x0
	v_add_nc_u64_e32 v[4:5], s[6:7], v[2:3]
	v_add_nc_u64_e32 v[2:3], s[8:9], v[2:3]
	;; [unrolled: 1-line block ×3, first 2 shown]
.LBB7_3:                                ; =>This Inner Loop Header: Depth=1
	global_load_u16 v8, v[4:5], off
	v_add_nc_u32_e32 v1, 1, v1
	s_wait_xcnt 0x0
	v_add_nc_u64_e32 v[4:5], 2, v[4:5]
	s_wait_loadcnt 0x0
	v_cmp_eq_u16_e32 vcc_lo, v8, v7
	v_cndmask_b32_e64 v7, v6, 0, vcc_lo
	v_add_nc_u32_e32 v6, 1, v6
	v_cmp_ge_i32_e64 s0, v1, v0
	global_store_b16 v[2:3], v7, off
	s_wait_xcnt 0x0
	v_add_nc_u64_e32 v[2:3], 2, v[2:3]
	v_dual_mov_b32 v7, v8 :: v_dual_cndmask_b32 v6, 1, v6
	s_or_b32 s2, s0, s2
	s_delay_alu instid0(SALU_CYCLE_1)
	s_and_not1_b32 exec_lo, exec_lo, s2
	s_cbranch_execnz .LBB7_3
; %bb.4:
	s_or_b32 exec_lo, exec_lo, s2
.LBB7_5:
	s_delay_alu instid0(SALU_CYCLE_1) | instskip(SKIP_1) | instid1(VALU_DEP_1)
	s_or_b32 exec_lo, exec_lo, s1
	v_dual_mov_b32 v0, 0 :: v_dual_add_nc_u32 v1, -1, v0
	v_ashrrev_i64 v[0:1], 31, v[0:1]
	s_delay_alu instid0(VALU_DEP_1)
	v_add_nc_u64_e32 v[0:1], s[8:9], v[0:1]
	global_store_b16 v[0:1], v6, off
.LBB7_6:
	s_endpgm
	.section	.rodata,"a",@progbits
	.p2align	6, 0x0
	.amdhsa_kernel _Z17kernel_mergeIndexPKlPKtPtS0_i
		.amdhsa_group_segment_fixed_size 0
		.amdhsa_private_segment_fixed_size 0
		.amdhsa_kernarg_size 296
		.amdhsa_user_sgpr_count 2
		.amdhsa_user_sgpr_dispatch_ptr 0
		.amdhsa_user_sgpr_queue_ptr 0
		.amdhsa_user_sgpr_kernarg_segment_ptr 1
		.amdhsa_user_sgpr_dispatch_id 0
		.amdhsa_user_sgpr_kernarg_preload_length 0
		.amdhsa_user_sgpr_kernarg_preload_offset 0
		.amdhsa_user_sgpr_private_segment_size 0
		.amdhsa_wavefront_size32 1
		.amdhsa_uses_dynamic_stack 0
		.amdhsa_enable_private_segment 0
		.amdhsa_system_sgpr_workgroup_id_x 1
		.amdhsa_system_sgpr_workgroup_id_y 0
		.amdhsa_system_sgpr_workgroup_id_z 0
		.amdhsa_system_sgpr_workgroup_info 0
		.amdhsa_system_vgpr_workitem_id 0
		.amdhsa_next_free_vgpr 9
		.amdhsa_next_free_sgpr 12
		.amdhsa_named_barrier_count 0
		.amdhsa_reserve_vcc 1
		.amdhsa_float_round_mode_32 0
		.amdhsa_float_round_mode_16_64 0
		.amdhsa_float_denorm_mode_32 3
		.amdhsa_float_denorm_mode_16_64 3
		.amdhsa_fp16_overflow 0
		.amdhsa_memory_ordered 1
		.amdhsa_forward_progress 1
		.amdhsa_inst_pref_size 4
		.amdhsa_round_robin_scheduling 0
		.amdhsa_exception_fp_ieee_invalid_op 0
		.amdhsa_exception_fp_denorm_src 0
		.amdhsa_exception_fp_ieee_div_zero 0
		.amdhsa_exception_fp_ieee_overflow 0
		.amdhsa_exception_fp_ieee_underflow 0
		.amdhsa_exception_fp_ieee_inexact 0
		.amdhsa_exception_int_div_zero 0
	.end_amdhsa_kernel
	.text
.Lfunc_end7:
	.size	_Z17kernel_mergeIndexPKlPKtPtS0_i, .Lfunc_end7-_Z17kernel_mergeIndexPKlPKtPtS0_i
                                        ; -- End function
	.set _Z17kernel_mergeIndexPKlPKtPtS0_i.num_vgpr, 9
	.set _Z17kernel_mergeIndexPKlPKtPtS0_i.num_agpr, 0
	.set _Z17kernel_mergeIndexPKlPKtPtS0_i.numbered_sgpr, 12
	.set _Z17kernel_mergeIndexPKlPKtPtS0_i.num_named_barrier, 0
	.set _Z17kernel_mergeIndexPKlPKtPtS0_i.private_seg_size, 0
	.set _Z17kernel_mergeIndexPKlPKtPtS0_i.uses_vcc, 1
	.set _Z17kernel_mergeIndexPKlPKtPtS0_i.uses_flat_scratch, 0
	.set _Z17kernel_mergeIndexPKlPKtPtS0_i.has_dyn_sized_stack, 0
	.set _Z17kernel_mergeIndexPKlPKtPtS0_i.has_recursion, 0
	.set _Z17kernel_mergeIndexPKlPKtPtS0_i.has_indirect_call, 0
	.section	.AMDGPU.csdata,"",@progbits
; Kernel info:
; codeLenInByte = 400
; TotalNumSgprs: 14
; NumVgprs: 9
; ScratchSize: 0
; MemoryBound: 0
; FloatMode: 240
; IeeeMode: 1
; LDSByteSize: 0 bytes/workgroup (compile time only)
; SGPRBlocks: 0
; VGPRBlocks: 0
; NumSGPRsForWavesPerEU: 14
; NumVGPRsForWavesPerEU: 9
; NamedBarCnt: 0
; Occupancy: 16
; WaveLimiterHint : 1
; COMPUTE_PGM_RSRC2:SCRATCH_EN: 0
; COMPUTE_PGM_RSRC2:USER_SGPR: 2
; COMPUTE_PGM_RSRC2:TRAP_HANDLER: 0
; COMPUTE_PGM_RSRC2:TGID_X_EN: 1
; COMPUTE_PGM_RSRC2:TGID_Y_EN: 0
; COMPUTE_PGM_RSRC2:TGID_Z_EN: 0
; COMPUTE_PGM_RSRC2:TIDIG_COMP_CNT: 0
	.text
	.protected	_Z27kernel_updateRepresentativePiS_i ; -- Begin function _Z27kernel_updateRepresentativePiS_i
	.globl	_Z27kernel_updateRepresentativePiS_i
	.p2align	8
	.type	_Z27kernel_updateRepresentativePiS_i,@function
_Z27kernel_updateRepresentativePiS_i:   ; @_Z27kernel_updateRepresentativePiS_i
; %bb.0:
	s_clause 0x1
	s_load_b128 s[4:7], s[0:1], 0x0
	s_load_b32 s8, s[0:1], 0x10
	s_wait_kmcnt 0x0
	s_load_b32 s0, s[6:7], 0x0
	s_wait_kmcnt 0x0
	s_ashr_i32 s1, s0, 31
	s_delay_alu instid0(SALU_CYCLE_1)
	s_lshl_b64 s[2:3], s[0:1], 2
	s_add_co_i32 s1, s0, 1
	s_add_nc_u64 s[2:3], s[4:5], s[2:3]
	s_max_i32 s1, s8, s1
	s_add_nc_u64 s[2:3], s[2:3], 4
	s_branch .LBB8_2
.LBB8_1:                                ;   in Loop: Header=BB8_2 Depth=1
	s_and_not1_b32 vcc_lo, exec_lo, s5
	s_cbranch_vccz .LBB8_4
.LBB8_2:                                ; =>This Inner Loop Header: Depth=1
	s_add_co_i32 s0, s0, 1
	s_mov_b32 s4, -1
	s_cmp_ge_i32 s0, s8
	s_mov_b32 s5, -1
	s_cbranch_scc1 .LBB8_1
; %bb.3:                                ;   in Loop: Header=BB8_2 Depth=1
	s_load_b32 s4, s[2:3], 0x0
	s_wait_xcnt 0x0
	s_add_nc_u64 s[2:3], s[2:3], 4
	s_wait_kmcnt 0x0
	s_cmp_lt_i32 s4, 0
	s_mov_b32 s4, 0
	s_cselect_b32 s5, -1, 0
	s_branch .LBB8_1
.LBB8_4:
	s_and_not1_b32 vcc_lo, exec_lo, s4
	s_cbranch_vccz .LBB8_6
; %bb.5:
	v_dual_mov_b32 v0, 0 :: v_dual_mov_b32 v1, s0
	s_mov_b32 s1, s0
	global_store_b32 v0, v1, s[2:3] offset:-4
.LBB8_6:
	s_wait_xcnt 0x0
	v_dual_mov_b32 v0, 0 :: v_dual_mov_b32 v1, s1
	global_store_b32 v0, v1, s[6:7]
	s_endpgm
	.section	.rodata,"a",@progbits
	.p2align	6, 0x0
	.amdhsa_kernel _Z27kernel_updateRepresentativePiS_i
		.amdhsa_group_segment_fixed_size 0
		.amdhsa_private_segment_fixed_size 0
		.amdhsa_kernarg_size 20
		.amdhsa_user_sgpr_count 2
		.amdhsa_user_sgpr_dispatch_ptr 0
		.amdhsa_user_sgpr_queue_ptr 0
		.amdhsa_user_sgpr_kernarg_segment_ptr 1
		.amdhsa_user_sgpr_dispatch_id 0
		.amdhsa_user_sgpr_kernarg_preload_length 0
		.amdhsa_user_sgpr_kernarg_preload_offset 0
		.amdhsa_user_sgpr_private_segment_size 0
		.amdhsa_wavefront_size32 1
		.amdhsa_uses_dynamic_stack 0
		.amdhsa_enable_private_segment 0
		.amdhsa_system_sgpr_workgroup_id_x 1
		.amdhsa_system_sgpr_workgroup_id_y 0
		.amdhsa_system_sgpr_workgroup_id_z 0
		.amdhsa_system_sgpr_workgroup_info 0
		.amdhsa_system_vgpr_workitem_id 0
		.amdhsa_next_free_vgpr 2
		.amdhsa_next_free_sgpr 9
		.amdhsa_named_barrier_count 0
		.amdhsa_reserve_vcc 1
		.amdhsa_float_round_mode_32 0
		.amdhsa_float_round_mode_16_64 0
		.amdhsa_float_denorm_mode_32 3
		.amdhsa_float_denorm_mode_16_64 3
		.amdhsa_fp16_overflow 0
		.amdhsa_memory_ordered 1
		.amdhsa_forward_progress 1
		.amdhsa_inst_pref_size 2
		.amdhsa_round_robin_scheduling 0
		.amdhsa_exception_fp_ieee_invalid_op 0
		.amdhsa_exception_fp_denorm_src 0
		.amdhsa_exception_fp_ieee_div_zero 0
		.amdhsa_exception_fp_ieee_overflow 0
		.amdhsa_exception_fp_ieee_underflow 0
		.amdhsa_exception_fp_ieee_inexact 0
		.amdhsa_exception_int_div_zero 0
	.end_amdhsa_kernel
	.text
.Lfunc_end8:
	.size	_Z27kernel_updateRepresentativePiS_i, .Lfunc_end8-_Z27kernel_updateRepresentativePiS_i
                                        ; -- End function
	.set _Z27kernel_updateRepresentativePiS_i.num_vgpr, 2
	.set _Z27kernel_updateRepresentativePiS_i.num_agpr, 0
	.set _Z27kernel_updateRepresentativePiS_i.numbered_sgpr, 9
	.set _Z27kernel_updateRepresentativePiS_i.num_named_barrier, 0
	.set _Z27kernel_updateRepresentativePiS_i.private_seg_size, 0
	.set _Z27kernel_updateRepresentativePiS_i.uses_vcc, 1
	.set _Z27kernel_updateRepresentativePiS_i.uses_flat_scratch, 0
	.set _Z27kernel_updateRepresentativePiS_i.has_dyn_sized_stack, 0
	.set _Z27kernel_updateRepresentativePiS_i.has_recursion, 0
	.set _Z27kernel_updateRepresentativePiS_i.has_indirect_call, 0
	.section	.AMDGPU.csdata,"",@progbits
; Kernel info:
; codeLenInByte = 192
; TotalNumSgprs: 11
; NumVgprs: 2
; ScratchSize: 0
; MemoryBound: 0
; FloatMode: 240
; IeeeMode: 1
; LDSByteSize: 0 bytes/workgroup (compile time only)
; SGPRBlocks: 0
; VGPRBlocks: 0
; NumSGPRsForWavesPerEU: 11
; NumVGPRsForWavesPerEU: 2
; NamedBarCnt: 0
; Occupancy: 16
; WaveLimiterHint : 0
; COMPUTE_PGM_RSRC2:SCRATCH_EN: 0
; COMPUTE_PGM_RSRC2:USER_SGPR: 2
; COMPUTE_PGM_RSRC2:TRAP_HANDLER: 0
; COMPUTE_PGM_RSRC2:TGID_X_EN: 1
; COMPUTE_PGM_RSRC2:TGID_Y_EN: 0
; COMPUTE_PGM_RSRC2:TGID_Z_EN: 0
; COMPUTE_PGM_RSRC2:TIDIG_COMP_CNT: 0
	.text
	.protected	_Z16kernel_makeTablePKlPKtS2_S0_Pti ; -- Begin function _Z16kernel_makeTablePKlPKtS2_S0_Pti
	.globl	_Z16kernel_makeTablePKlPKtS2_S0_Pti
	.p2align	8
	.type	_Z16kernel_makeTablePKlPKtS2_S0_Pti,@function
_Z16kernel_makeTablePKlPKtS2_S0_Pti:    ; @_Z16kernel_makeTablePKlPKtS2_S0_Pti
; %bb.0:
	s_clause 0x2
	s_load_b32 s2, s[0:1], 0x28
	s_load_b32 s12, s[0:1], 0x3c
	s_load_b256 s[4:11], s[0:1], 0x0
	s_bfe_u32 s3, ttmp6, 0x4000c
	s_and_b32 s13, ttmp6, 15
	s_add_co_i32 s3, s3, 1
	s_getreg_b32 s14, hwreg(HW_REG_IB_STS2, 6, 4)
	s_mul_i32 s3, ttmp9, s3
	s_delay_alu instid0(SALU_CYCLE_1)
	s_add_co_i32 s13, s13, s3
	s_wait_kmcnt 0x0
	s_ashr_i32 s3, s2, 31
	s_and_b32 s12, s12, 0xffff
	s_cmp_eq_u32 s14, 0
	s_cselect_b32 s13, ttmp9, s13
	s_lshl_b64 s[2:3], s[2:3], 3
	s_mul_i32 s13, s13, s12
	s_add_nc_u64 s[4:5], s[4:5], s[2:3]
	s_add_nc_u64 s[2:3], s[10:11], s[2:3]
	s_load_b32 s4, s[4:5], 0x0
	s_wait_kmcnt 0x0
	v_add3_u32 v0, s4, s13, v0
	s_load_b32 s2, s[2:3], 0x0
	s_wait_xcnt 0x0
	s_mov_b32 s3, 0
	s_wait_kmcnt 0x0
	s_add_co_i32 s2, s2, s4
	s_mov_b32 s4, exec_lo
	v_cmpx_gt_i32_e64 s2, v0
	s_cbranch_execz .LBB9_5
; %bb.1:
	s_load_b64 s[0:1], s[0:1], 0x20
	v_ashrrev_i32_e32 v1, 31, v0
	s_delay_alu instid0(VALU_DEP_1) | instskip(NEXT) | instid1(VALU_DEP_1)
	v_lshlrev_b64_e32 v[4:5], 1, v[0:1]
	v_add_nc_u64_e32 v[2:3], s[8:9], v[4:5]
	v_add_nc_u64_e32 v[4:5], s[6:7], v[4:5]
	s_branch .LBB9_3
.LBB9_2:                                ;   in Loop: Header=BB9_3 Depth=1
	s_wait_xcnt 0x0
	s_or_b32 exec_lo, exec_lo, s4
	v_add_nc_u32_e32 v0, 0x4000, v0
	v_add_nc_u64_e32 v[2:3], 0x8000, v[2:3]
	v_add_nc_u64_e32 v[4:5], 0x8000, v[4:5]
	s_delay_alu instid0(VALU_DEP_3) | instskip(SKIP_1) | instid1(SALU_CYCLE_1)
	v_cmp_le_i32_e32 vcc_lo, s2, v0
	s_or_b32 s3, vcc_lo, s3
	s_and_not1_b32 exec_lo, exec_lo, s3
	s_cbranch_execz .LBB9_5
.LBB9_3:                                ; =>This Inner Loop Header: Depth=1
	global_load_u16 v1, v[2:3], off
	s_mov_b32 s4, exec_lo
	s_wait_loadcnt 0x0
	s_wait_xcnt 0x0
	v_cmpx_ne_u16_e32 0, v1
	s_cbranch_execz .LBB9_2
; %bb.4:                                ;   in Loop: Header=BB9_3 Depth=1
	global_load_u16 v6, v[4:5], off
	s_wait_loadcnt 0x0
	s_wait_kmcnt 0x0
	global_store_b16 v6, v1, s[0:1] scale_offset
	s_branch .LBB9_2
.LBB9_5:
	s_endpgm
	.section	.rodata,"a",@progbits
	.p2align	6, 0x0
	.amdhsa_kernel _Z16kernel_makeTablePKlPKtS2_S0_Pti
		.amdhsa_group_segment_fixed_size 0
		.amdhsa_private_segment_fixed_size 0
		.amdhsa_kernarg_size 304
		.amdhsa_user_sgpr_count 2
		.amdhsa_user_sgpr_dispatch_ptr 0
		.amdhsa_user_sgpr_queue_ptr 0
		.amdhsa_user_sgpr_kernarg_segment_ptr 1
		.amdhsa_user_sgpr_dispatch_id 0
		.amdhsa_user_sgpr_kernarg_preload_length 0
		.amdhsa_user_sgpr_kernarg_preload_offset 0
		.amdhsa_user_sgpr_private_segment_size 0
		.amdhsa_wavefront_size32 1
		.amdhsa_uses_dynamic_stack 0
		.amdhsa_enable_private_segment 0
		.amdhsa_system_sgpr_workgroup_id_x 1
		.amdhsa_system_sgpr_workgroup_id_y 0
		.amdhsa_system_sgpr_workgroup_id_z 0
		.amdhsa_system_sgpr_workgroup_info 0
		.amdhsa_system_vgpr_workitem_id 0
		.amdhsa_next_free_vgpr 7
		.amdhsa_next_free_sgpr 15
		.amdhsa_named_barrier_count 0
		.amdhsa_reserve_vcc 1
		.amdhsa_float_round_mode_32 0
		.amdhsa_float_round_mode_16_64 0
		.amdhsa_float_denorm_mode_32 3
		.amdhsa_float_denorm_mode_16_64 3
		.amdhsa_fp16_overflow 0
		.amdhsa_memory_ordered 1
		.amdhsa_forward_progress 1
		.amdhsa_inst_pref_size 3
		.amdhsa_round_robin_scheduling 0
		.amdhsa_exception_fp_ieee_invalid_op 0
		.amdhsa_exception_fp_denorm_src 0
		.amdhsa_exception_fp_ieee_div_zero 0
		.amdhsa_exception_fp_ieee_overflow 0
		.amdhsa_exception_fp_ieee_underflow 0
		.amdhsa_exception_fp_ieee_inexact 0
		.amdhsa_exception_int_div_zero 0
	.end_amdhsa_kernel
	.text
.Lfunc_end9:
	.size	_Z16kernel_makeTablePKlPKtS2_S0_Pti, .Lfunc_end9-_Z16kernel_makeTablePKlPKtS2_S0_Pti
                                        ; -- End function
	.set _Z16kernel_makeTablePKlPKtS2_S0_Pti.num_vgpr, 7
	.set _Z16kernel_makeTablePKlPKtS2_S0_Pti.num_agpr, 0
	.set _Z16kernel_makeTablePKlPKtS2_S0_Pti.numbered_sgpr, 15
	.set _Z16kernel_makeTablePKlPKtS2_S0_Pti.num_named_barrier, 0
	.set _Z16kernel_makeTablePKlPKtS2_S0_Pti.private_seg_size, 0
	.set _Z16kernel_makeTablePKlPKtS2_S0_Pti.uses_vcc, 1
	.set _Z16kernel_makeTablePKlPKtS2_S0_Pti.uses_flat_scratch, 0
	.set _Z16kernel_makeTablePKlPKtS2_S0_Pti.has_dyn_sized_stack, 0
	.set _Z16kernel_makeTablePKlPKtS2_S0_Pti.has_recursion, 0
	.set _Z16kernel_makeTablePKlPKtS2_S0_Pti.has_indirect_call, 0
	.section	.AMDGPU.csdata,"",@progbits
; Kernel info:
; codeLenInByte = 316
; TotalNumSgprs: 17
; NumVgprs: 7
; ScratchSize: 0
; MemoryBound: 0
; FloatMode: 240
; IeeeMode: 1
; LDSByteSize: 0 bytes/workgroup (compile time only)
; SGPRBlocks: 0
; VGPRBlocks: 0
; NumSGPRsForWavesPerEU: 17
; NumVGPRsForWavesPerEU: 7
; NamedBarCnt: 0
; Occupancy: 16
; WaveLimiterHint : 1
; COMPUTE_PGM_RSRC2:SCRATCH_EN: 0
; COMPUTE_PGM_RSRC2:USER_SGPR: 2
; COMPUTE_PGM_RSRC2:TRAP_HANDLER: 0
; COMPUTE_PGM_RSRC2:TGID_X_EN: 1
; COMPUTE_PGM_RSRC2:TGID_Y_EN: 0
; COMPUTE_PGM_RSRC2:TGID_Z_EN: 0
; COMPUTE_PGM_RSRC2:TIDIG_COMP_CNT: 0
	.text
	.protected	_Z17kernel_cleanTablePKlPKtS2_S0_Pti ; -- Begin function _Z17kernel_cleanTablePKlPKtS2_S0_Pti
	.globl	_Z17kernel_cleanTablePKlPKtS2_S0_Pti
	.p2align	8
	.type	_Z17kernel_cleanTablePKlPKtS2_S0_Pti,@function
_Z17kernel_cleanTablePKlPKtS2_S0_Pti:   ; @_Z17kernel_cleanTablePKlPKtS2_S0_Pti
; %bb.0:
	s_clause 0x2
	s_load_b32 s2, s[0:1], 0x28
	s_load_b32 s12, s[0:1], 0x3c
	s_load_b256 s[4:11], s[0:1], 0x0
	s_bfe_u32 s3, ttmp6, 0x4000c
	s_and_b32 s13, ttmp6, 15
	s_add_co_i32 s3, s3, 1
	s_getreg_b32 s14, hwreg(HW_REG_IB_STS2, 6, 4)
	s_mul_i32 s3, ttmp9, s3
	s_delay_alu instid0(SALU_CYCLE_1)
	s_add_co_i32 s13, s13, s3
	s_wait_kmcnt 0x0
	s_ashr_i32 s3, s2, 31
	s_and_b32 s12, s12, 0xffff
	s_cmp_eq_u32 s14, 0
	s_cselect_b32 s13, ttmp9, s13
	s_lshl_b64 s[2:3], s[2:3], 3
	s_mul_i32 s13, s13, s12
	s_add_nc_u64 s[4:5], s[4:5], s[2:3]
	s_add_nc_u64 s[2:3], s[10:11], s[2:3]
	s_load_b32 s4, s[4:5], 0x0
	s_wait_kmcnt 0x0
	v_add3_u32 v0, s4, s13, v0
	s_load_b32 s2, s[2:3], 0x0
	s_wait_xcnt 0x0
	s_mov_b32 s3, 0
	s_wait_kmcnt 0x0
	s_add_co_i32 s2, s2, s4
	s_mov_b32 s4, exec_lo
	v_cmpx_gt_i32_e64 s2, v0
	s_cbranch_execz .LBB10_5
; %bb.1:
	s_load_b64 s[0:1], s[0:1], 0x20
	v_ashrrev_i32_e32 v1, 31, v0
	s_delay_alu instid0(VALU_DEP_1) | instskip(SKIP_1) | instid1(VALU_DEP_2)
	v_lshlrev_b64_e32 v[4:5], 1, v[0:1]
	v_mov_b32_e32 v1, 0
	v_add_nc_u64_e32 v[2:3], s[8:9], v[4:5]
	v_add_nc_u64_e32 v[4:5], s[6:7], v[4:5]
	s_branch .LBB10_3
.LBB10_2:                               ;   in Loop: Header=BB10_3 Depth=1
	s_wait_xcnt 0x0
	s_or_b32 exec_lo, exec_lo, s4
	v_add_nc_u32_e32 v0, 0x4000, v0
	v_add_nc_u64_e32 v[2:3], 0x8000, v[2:3]
	v_add_nc_u64_e32 v[4:5], 0x8000, v[4:5]
	s_delay_alu instid0(VALU_DEP_3) | instskip(SKIP_1) | instid1(SALU_CYCLE_1)
	v_cmp_le_i32_e32 vcc_lo, s2, v0
	s_or_b32 s3, vcc_lo, s3
	s_and_not1_b32 exec_lo, exec_lo, s3
	s_cbranch_execz .LBB10_5
.LBB10_3:                               ; =>This Inner Loop Header: Depth=1
	global_load_u16 v6, v[2:3], off
	s_mov_b32 s4, exec_lo
	s_wait_loadcnt 0x0
	s_wait_xcnt 0x0
	v_cmpx_ne_u16_e32 0, v6
	s_cbranch_execz .LBB10_2
; %bb.4:                                ;   in Loop: Header=BB10_3 Depth=1
	global_load_u16 v6, v[4:5], off
	s_wait_loadcnt 0x0
	s_wait_kmcnt 0x0
	global_store_b16 v6, v1, s[0:1] scale_offset
	s_branch .LBB10_2
.LBB10_5:
	s_endpgm
	.section	.rodata,"a",@progbits
	.p2align	6, 0x0
	.amdhsa_kernel _Z17kernel_cleanTablePKlPKtS2_S0_Pti
		.amdhsa_group_segment_fixed_size 0
		.amdhsa_private_segment_fixed_size 0
		.amdhsa_kernarg_size 304
		.amdhsa_user_sgpr_count 2
		.amdhsa_user_sgpr_dispatch_ptr 0
		.amdhsa_user_sgpr_queue_ptr 0
		.amdhsa_user_sgpr_kernarg_segment_ptr 1
		.amdhsa_user_sgpr_dispatch_id 0
		.amdhsa_user_sgpr_kernarg_preload_length 0
		.amdhsa_user_sgpr_kernarg_preload_offset 0
		.amdhsa_user_sgpr_private_segment_size 0
		.amdhsa_wavefront_size32 1
		.amdhsa_uses_dynamic_stack 0
		.amdhsa_enable_private_segment 0
		.amdhsa_system_sgpr_workgroup_id_x 1
		.amdhsa_system_sgpr_workgroup_id_y 0
		.amdhsa_system_sgpr_workgroup_id_z 0
		.amdhsa_system_sgpr_workgroup_info 0
		.amdhsa_system_vgpr_workitem_id 0
		.amdhsa_next_free_vgpr 7
		.amdhsa_next_free_sgpr 15
		.amdhsa_named_barrier_count 0
		.amdhsa_reserve_vcc 1
		.amdhsa_float_round_mode_32 0
		.amdhsa_float_round_mode_16_64 0
		.amdhsa_float_denorm_mode_32 3
		.amdhsa_float_denorm_mode_16_64 3
		.amdhsa_fp16_overflow 0
		.amdhsa_memory_ordered 1
		.amdhsa_forward_progress 1
		.amdhsa_inst_pref_size 3
		.amdhsa_round_robin_scheduling 0
		.amdhsa_exception_fp_ieee_invalid_op 0
		.amdhsa_exception_fp_denorm_src 0
		.amdhsa_exception_fp_ieee_div_zero 0
		.amdhsa_exception_fp_ieee_overflow 0
		.amdhsa_exception_fp_ieee_underflow 0
		.amdhsa_exception_fp_ieee_inexact 0
		.amdhsa_exception_int_div_zero 0
	.end_amdhsa_kernel
	.text
.Lfunc_end10:
	.size	_Z17kernel_cleanTablePKlPKtS2_S0_Pti, .Lfunc_end10-_Z17kernel_cleanTablePKlPKtS2_S0_Pti
                                        ; -- End function
	.set _Z17kernel_cleanTablePKlPKtS2_S0_Pti.num_vgpr, 7
	.set _Z17kernel_cleanTablePKlPKtS2_S0_Pti.num_agpr, 0
	.set _Z17kernel_cleanTablePKlPKtS2_S0_Pti.numbered_sgpr, 15
	.set _Z17kernel_cleanTablePKlPKtS2_S0_Pti.num_named_barrier, 0
	.set _Z17kernel_cleanTablePKlPKtS2_S0_Pti.private_seg_size, 0
	.set _Z17kernel_cleanTablePKlPKtS2_S0_Pti.uses_vcc, 1
	.set _Z17kernel_cleanTablePKlPKtS2_S0_Pti.uses_flat_scratch, 0
	.set _Z17kernel_cleanTablePKlPKtS2_S0_Pti.has_dyn_sized_stack, 0
	.set _Z17kernel_cleanTablePKlPKtS2_S0_Pti.has_recursion, 0
	.set _Z17kernel_cleanTablePKlPKtS2_S0_Pti.has_indirect_call, 0
	.section	.AMDGPU.csdata,"",@progbits
; Kernel info:
; codeLenInByte = 320
; TotalNumSgprs: 17
; NumVgprs: 7
; ScratchSize: 0
; MemoryBound: 0
; FloatMode: 240
; IeeeMode: 1
; LDSByteSize: 0 bytes/workgroup (compile time only)
; SGPRBlocks: 0
; VGPRBlocks: 0
; NumSGPRsForWavesPerEU: 17
; NumVGPRsForWavesPerEU: 7
; NamedBarCnt: 0
; Occupancy: 16
; WaveLimiterHint : 1
; COMPUTE_PGM_RSRC2:SCRATCH_EN: 0
; COMPUTE_PGM_RSRC2:USER_SGPR: 2
; COMPUTE_PGM_RSRC2:TRAP_HANDLER: 0
; COMPUTE_PGM_RSRC2:TGID_X_EN: 1
; COMPUTE_PGM_RSRC2:TGID_Y_EN: 0
; COMPUTE_PGM_RSRC2:TGID_Z_EN: 0
; COMPUTE_PGM_RSRC2:TIDIG_COMP_CNT: 0
	.text
	.protected	_Z12kernel_magicfPKiS0_Piii ; -- Begin function _Z12kernel_magicfPKiS0_Piii
	.globl	_Z12kernel_magicfPKiS0_Piii
	.p2align	8
	.type	_Z12kernel_magicfPKiS0_Piii,@function
_Z12kernel_magicfPKiS0_Piii:            ; @_Z12kernel_magicfPKiS0_Piii
; %bb.0:
	s_clause 0x1
	s_load_b32 s4, s[0:1], 0x34
	s_load_b64 s[2:3], s[0:1], 0x20
	s_bfe_u32 s5, ttmp6, 0x4000c
	s_and_b32 s6, ttmp6, 15
	s_add_co_i32 s5, s5, 1
	s_getreg_b32 s7, hwreg(HW_REG_IB_STS2, 6, 4)
	s_mul_i32 s5, ttmp9, s5
	s_delay_alu instid0(SALU_CYCLE_1) | instskip(SKIP_4) | instid1(SALU_CYCLE_1)
	s_add_co_i32 s6, s6, s5
	s_wait_kmcnt 0x0
	s_and_b32 s4, s4, 0xffff
	s_cmp_eq_u32 s7, 0
	s_cselect_b32 s5, ttmp9, s6
	v_mad_u32 v0, s5, s4, v0
	s_delay_alu instid0(VALU_DEP_1)
	v_cmp_gt_i32_e32 vcc_lo, s3, v0
	s_and_saveexec_b32 s3, vcc_lo
	s_cbranch_execz .LBB11_4
; %bb.1:
	s_load_b64 s[4:5], s[0:1], 0x18
	s_wait_kmcnt 0x0
	global_load_b32 v1, v0, s[4:5] scale_offset
	s_wait_loadcnt 0x0
	v_cmp_gt_i32_e32 vcc_lo, 0, v1
	s_and_b32 exec_lo, exec_lo, vcc_lo
	s_cbranch_execz .LBB11_4
; %bb.2:
	s_clause 0x1
	s_load_b128 s[8:11], s[0:1], 0x8
	s_load_b32 s12, s[0:1], 0x0
	v_dual_lshlrev_b32 v2, 2, v0 :: v_dual_ashrrev_i32 v1, 31, v0
	s_wait_xcnt 0x0
	s_lshl_b32 s0, s2, 2
	s_delay_alu instid0(SALU_CYCLE_1) | instskip(NEXT) | instid1(VALU_DEP_1)
	s_ashr_i32 s1, s0, 31
	v_ashrrev_i32_e32 v3, 31, v2
	s_lshl_b64 s[0:1], s[0:1], 2
	s_wait_kmcnt 0x0
	v_lshl_add_u64 v[6:7], v[0:1], 2, s[8:9]
	s_delay_alu instid0(VALU_DEP_2)
	v_lshl_add_u64 v[8:9], v[2:3], 2, s[10:11]
	s_add_nc_u64 s[6:7], s[10:11], s[0:1]
	global_load_b32 v10, v[6:7], off
	global_load_b128 v[2:5], v[8:9], off
	s_load_b128 s[0:3], s[6:7], 0x0
	s_wait_loadcnt 0x1
	v_cvt_f32_i32_e32 v6, v10
	s_wait_loadcnt 0x0
	s_wait_kmcnt 0x0
	v_min_i32_e32 v2, s0, v2
	s_delay_alu instid0(VALU_DEP_2) | instskip(NEXT) | instid1(VALU_DEP_1)
	v_dual_mul_f32 v6, s12, v6 :: v_dual_min_i32 v3, s1, v3
	v_dual_add_nc_u32 v2, v3, v2 :: v_dual_min_i32 v3, s2, v4
	v_min_i32_e32 v4, s3, v5
	s_delay_alu instid0(VALU_DEP_3) | instskip(NEXT) | instid1(VALU_DEP_2)
	v_ceil_f32_e32 v5, v6
	v_add3_u32 v2, v2, v3, v4
	s_delay_alu instid0(VALU_DEP_2) | instskip(NEXT) | instid1(VALU_DEP_1)
	v_cvt_i32_f32_e32 v3, v5
	v_cmp_gt_i32_e32 vcc_lo, v2, v3
	s_and_b32 exec_lo, exec_lo, vcc_lo
	s_cbranch_execz .LBB11_4
; %bb.3:
	v_lshl_add_u64 v[0:1], v[0:1], 2, s[4:5]
	v_mov_b32_e32 v2, -2
	global_store_b32 v[0:1], v2, off
.LBB11_4:
	s_endpgm
	.section	.rodata,"a",@progbits
	.p2align	6, 0x0
	.amdhsa_kernel _Z12kernel_magicfPKiS0_Piii
		.amdhsa_group_segment_fixed_size 0
		.amdhsa_private_segment_fixed_size 0
		.amdhsa_kernarg_size 296
		.amdhsa_user_sgpr_count 2
		.amdhsa_user_sgpr_dispatch_ptr 0
		.amdhsa_user_sgpr_queue_ptr 0
		.amdhsa_user_sgpr_kernarg_segment_ptr 1
		.amdhsa_user_sgpr_dispatch_id 0
		.amdhsa_user_sgpr_kernarg_preload_length 0
		.amdhsa_user_sgpr_kernarg_preload_offset 0
		.amdhsa_user_sgpr_private_segment_size 0
		.amdhsa_wavefront_size32 1
		.amdhsa_uses_dynamic_stack 0
		.amdhsa_enable_private_segment 0
		.amdhsa_system_sgpr_workgroup_id_x 1
		.amdhsa_system_sgpr_workgroup_id_y 0
		.amdhsa_system_sgpr_workgroup_id_z 0
		.amdhsa_system_sgpr_workgroup_info 0
		.amdhsa_system_vgpr_workitem_id 0
		.amdhsa_next_free_vgpr 11
		.amdhsa_next_free_sgpr 13
		.amdhsa_named_barrier_count 0
		.amdhsa_reserve_vcc 1
		.amdhsa_float_round_mode_32 0
		.amdhsa_float_round_mode_16_64 0
		.amdhsa_float_denorm_mode_32 3
		.amdhsa_float_denorm_mode_16_64 3
		.amdhsa_fp16_overflow 0
		.amdhsa_memory_ordered 1
		.amdhsa_forward_progress 1
		.amdhsa_inst_pref_size 3
		.amdhsa_round_robin_scheduling 0
		.amdhsa_exception_fp_ieee_invalid_op 0
		.amdhsa_exception_fp_denorm_src 0
		.amdhsa_exception_fp_ieee_div_zero 0
		.amdhsa_exception_fp_ieee_overflow 0
		.amdhsa_exception_fp_ieee_underflow 0
		.amdhsa_exception_fp_ieee_inexact 0
		.amdhsa_exception_int_div_zero 0
	.end_amdhsa_kernel
	.text
.Lfunc_end11:
	.size	_Z12kernel_magicfPKiS0_Piii, .Lfunc_end11-_Z12kernel_magicfPKiS0_Piii
                                        ; -- End function
	.set _Z12kernel_magicfPKiS0_Piii.num_vgpr, 11
	.set _Z12kernel_magicfPKiS0_Piii.num_agpr, 0
	.set _Z12kernel_magicfPKiS0_Piii.numbered_sgpr, 13
	.set _Z12kernel_magicfPKiS0_Piii.num_named_barrier, 0
	.set _Z12kernel_magicfPKiS0_Piii.private_seg_size, 0
	.set _Z12kernel_magicfPKiS0_Piii.uses_vcc, 1
	.set _Z12kernel_magicfPKiS0_Piii.uses_flat_scratch, 0
	.set _Z12kernel_magicfPKiS0_Piii.has_dyn_sized_stack, 0
	.set _Z12kernel_magicfPKiS0_Piii.has_recursion, 0
	.set _Z12kernel_magicfPKiS0_Piii.has_indirect_call, 0
	.section	.AMDGPU.csdata,"",@progbits
; Kernel info:
; codeLenInByte = 364
; TotalNumSgprs: 15
; NumVgprs: 11
; ScratchSize: 0
; MemoryBound: 0
; FloatMode: 240
; IeeeMode: 1
; LDSByteSize: 0 bytes/workgroup (compile time only)
; SGPRBlocks: 0
; VGPRBlocks: 0
; NumSGPRsForWavesPerEU: 15
; NumVGPRsForWavesPerEU: 11
; NamedBarCnt: 0
; Occupancy: 16
; WaveLimiterHint : 0
; COMPUTE_PGM_RSRC2:SCRATCH_EN: 0
; COMPUTE_PGM_RSRC2:USER_SGPR: 2
; COMPUTE_PGM_RSRC2:TRAP_HANDLER: 0
; COMPUTE_PGM_RSRC2:TGID_X_EN: 1
; COMPUTE_PGM_RSRC2:TGID_Y_EN: 0
; COMPUTE_PGM_RSRC2:TGID_Z_EN: 0
; COMPUTE_PGM_RSRC2:TIDIG_COMP_CNT: 0
	.text
	.protected	_Z13kernel_filterfiPKiPKlPKtS4_S2_S0_PiS4_i ; -- Begin function _Z13kernel_filterfiPKiPKlPKtS4_S2_S0_PiS4_i
	.globl	_Z13kernel_filterfiPKiPKlPKtS4_S2_S0_PiS4_i
	.p2align	8
	.type	_Z13kernel_filterfiPKiPKlPKtS4_S2_S0_PiS4_i,@function
_Z13kernel_filterfiPKiPKlPKtS4_S2_S0_PiS4_i: ; @_Z13kernel_filterfiPKiPKlPKtS4_S2_S0_PiS4_i
; %bb.0:
	s_load_b32 s2, s[0:1], 0x48
	s_bfe_u32 s3, ttmp6, 0x4000c
	s_and_b32 s4, ttmp6, 15
	s_add_co_i32 s3, s3, 1
	s_getreg_b32 s5, hwreg(HW_REG_IB_STS2, 6, 4)
	s_mul_i32 s3, ttmp9, s3
	s_delay_alu instid0(SALU_CYCLE_1)
	s_add_co_i32 s4, s4, s3
	s_cmp_eq_u32 s5, 0
	s_cselect_b32 s16, ttmp9, s4
	s_wait_kmcnt 0x0
	s_cmp_ge_i32 s16, s2
	s_cbranch_scc1 .LBB12_14
; %bb.1:
	s_load_b128 s[12:15], s[0:1], 0x30
	s_ashr_i32 s17, s16, 31
	s_delay_alu instid0(SALU_CYCLE_1)
	s_lshl_b64 s[20:21], s[16:17], 2
	s_wait_kmcnt 0x0
	s_add_nc_u64 s[2:3], s[14:15], s[20:21]
	s_load_b32 s4, s[2:3], 0x0
	s_wait_kmcnt 0x0
	s_cmp_lg_u32 s4, -2
	s_cbranch_scc1 .LBB12_14
; %bb.2:
	s_load_b256 s[4:11], s[0:1], 0x10
	s_lshl_b64 s[14:15], s[16:17], 3
	v_dual_mov_b32 v8, 0 :: v_dual_lshlrev_b32 v1, 2, v0
	s_wait_kmcnt 0x0
	s_add_nc_u64 s[4:5], s[4:5], s[14:15]
	s_add_nc_u64 s[10:11], s[10:11], s[14:15]
	s_load_b32 s4, s[4:5], 0x0
	s_wait_xcnt 0x0
	s_load_b32 s5, s[10:11], 0x0
	s_load_b128 s[16:19], s[0:1], 0x40
	s_wait_xcnt 0x0
	s_mov_b32 s0, exec_lo
	ds_store_b32 v1, v8
	s_wait_kmcnt 0x0
	v_add_nc_u32_e32 v2, s4, v0
	s_add_co_i32 s1, s5, s4
	s_delay_alu instid0(VALU_DEP_1) | instid1(SALU_CYCLE_1)
	v_cmpx_gt_i32_e64 s1, v2
	s_cbranch_execz .LBB12_12
; %bb.3:
	v_add_max_i32_e64 v3, 0x80, v2, s1
	s_mov_b32 s5, -1
	s_delay_alu instid0(VALU_DEP_1) | instskip(NEXT) | instid1(VALU_DEP_1)
	v_xad_u32 v3, v0, -1, v3
	v_subrev_nc_u32_e32 v3, s4, v3
	s_mov_b32 s4, exec_lo
	s_delay_alu instid0(VALU_DEP_1)
	v_cmpx_lt_u32_e32 0x7f, v3
	s_cbranch_execz .LBB12_7
; %bb.4:
	v_dual_mov_b32 v8, 0 :: v_dual_lshrrev_b32 v3, 7, v3
	s_mov_b32 s5, 0
	s_delay_alu instid0(VALU_DEP_1) | instskip(NEXT) | instid1(VALU_DEP_1)
	v_dual_mov_b32 v9, 0 :: v_dual_add_nc_u32 v6, 1, v3
	v_and_b32_e32 v7, 0x3fffffe, v6
	s_delay_alu instid0(VALU_DEP_1) | instskip(NEXT) | instid1(VALU_DEP_1)
	v_dual_mov_b32 v10, v7 :: v_dual_add_nc_u32 v3, 0x80, v2
	v_mov_b64_e32 v[4:5], v[2:3]
.LBB12_5:                               ; =>This Inner Loop Header: Depth=1
	s_clause 0x1
	global_load_u16 v3, v4, s[6:7] scale_offset
	global_load_u16 v11, v5, s[6:7] scale_offset
	s_wait_loadcnt 0x1
	v_and_b32_e32 v3, 0xffff, v3
	s_wait_loadcnt 0x0
	v_and_b32_e32 v11, 0xffff, v11
	s_clause 0x1
	global_load_u16 v12, v4, s[8:9] scale_offset
	global_load_u16 v13, v5, s[8:9] scale_offset
	s_clause 0x1
	global_load_u16 v14, v3, s[16:17] scale_offset
	global_load_u16 v15, v11, s[16:17] scale_offset
	s_wait_xcnt 0x2
	v_add_nc_u32_e32 v5, 0x100, v5
	v_add_nc_u32_e32 v4, 0x100, v4
	s_wait_loadcnt 0x2
	s_wait_xcnt 0x1
	v_perm_b32 v3, v13, v12, 0x5040100
	s_wait_loadcnt 0x0
	v_perm_b32 v11, v15, v14, 0x5040100
	s_delay_alu instid0(VALU_DEP_1) | instskip(NEXT) | instid1(VALU_DEP_1)
	v_pk_min_u16 v3, v11, v3
	v_dual_add_nc_u32 v10, -2, v10 :: v_dual_lshrrev_b32 v11, 16, v3
	v_and_b32_e32 v3, 0xffff, v3
	s_delay_alu instid0(VALU_DEP_2) | instskip(NEXT) | instid1(VALU_DEP_3)
	v_cmp_eq_u32_e32 vcc_lo, 0, v10
	v_add_nc_u32_e32 v9, v9, v11
	s_delay_alu instid0(VALU_DEP_3) | instskip(SKIP_1) | instid1(SALU_CYCLE_1)
	v_add_nc_u32_e32 v8, v8, v3
	s_or_b32 s5, vcc_lo, s5
	s_and_not1_b32 exec_lo, exec_lo, s5
	s_cbranch_execnz .LBB12_5
; %bb.6:
	s_or_b32 exec_lo, exec_lo, s5
	v_cmp_ne_u32_e32 vcc_lo, v6, v7
	v_lshl_add_u32 v2, v7, 7, v2
	v_add_nc_u32_e32 v8, v8, v9
	s_or_not1_b32 s5, vcc_lo, exec_lo
.LBB12_7:
	s_or_b32 exec_lo, exec_lo, s4
	s_and_saveexec_b32 s4, s5
	s_cbranch_execz .LBB12_11
; %bb.8:
	v_ashrrev_i32_e32 v3, 31, v2
	s_mov_b32 s5, 0
	s_delay_alu instid0(VALU_DEP_1) | instskip(NEXT) | instid1(VALU_DEP_1)
	v_lshlrev_b64_e32 v[6:7], 1, v[2:3]
	v_add_nc_u64_e32 v[4:5], s[6:7], v[6:7]
	v_add_nc_u64_e32 v[6:7], s[8:9], v[6:7]
.LBB12_9:                               ; =>This Inner Loop Header: Depth=1
	global_load_u16 v3, v[4:5], off
	global_load_u16 v9, v[6:7], off
	v_add_nc_u32_e32 v2, 0x80, v2
	s_wait_xcnt 0x1
	v_add_nc_u64_e32 v[4:5], 0x100, v[4:5]
	s_wait_xcnt 0x0
	v_add_nc_u64_e32 v[6:7], 0x100, v[6:7]
	v_cmp_le_i32_e32 vcc_lo, s1, v2
	s_or_b32 s5, vcc_lo, s5
	s_wait_loadcnt 0x1
	global_load_u16 v3, v3, s[16:17] scale_offset
	s_wait_loadcnt 0x0
	v_min_u16 v3, v3, v9
	s_delay_alu instid0(VALU_DEP_1) | instskip(NEXT) | instid1(VALU_DEP_1)
	v_and_b32_e32 v3, 0xffff, v3
	v_add_nc_u32_e32 v8, v8, v3
	s_and_not1_b32 exec_lo, exec_lo, s5
	s_cbranch_execnz .LBB12_9
; %bb.10:
	s_or_b32 exec_lo, exec_lo, s5
.LBB12_11:
	s_delay_alu instid0(SALU_CYCLE_1)
	s_or_b32 exec_lo, exec_lo, s4
	ds_store_b32 v1, v8
.LBB12_12:
	s_or_b32 exec_lo, exec_lo, s0
	s_wait_dscnt 0x0
	s_barrier_signal -1
	s_barrier_wait -1
	s_mov_b32 s0, exec_lo
	v_cmpx_eq_u32_e32 0, v0
	s_cbranch_execz .LBB12_14
; %bb.13:
	v_mov_b32_e32 v0, 0
	s_add_nc_u64 s[0:1], s[12:13], s[20:21]
	ds_load_b128 v[2:5], v0
	ds_load_b128 v[6:9], v0 offset:16
	s_load_b32 s0, s[0:1], 0x0
	s_wait_dscnt 0x1
	v_add_nc_u32_e32 v1, v2, v3
	s_delay_alu instid0(VALU_DEP_1) | instskip(NEXT) | instid1(VALU_DEP_1)
	v_add_nc_u32_e32 v1, v1, v4
	v_add_nc_u32_e32 v1, v1, v5
	ds_load_b128 v[2:5], v0 offset:32
	s_wait_dscnt 0x1
	v_add_nc_u32_e32 v1, v1, v6
	s_delay_alu instid0(VALU_DEP_1) | instskip(NEXT) | instid1(VALU_DEP_1)
	v_add_nc_u32_e32 v1, v1, v7
	v_add_nc_u32_e32 v1, v1, v8
	s_delay_alu instid0(VALU_DEP_1) | instskip(SKIP_3) | instid1(VALU_DEP_1)
	v_add_nc_u32_e32 v1, v1, v9
	ds_load_b128 v[6:9], v0 offset:48
	s_wait_dscnt 0x1
	v_add_nc_u32_e32 v1, v1, v2
	v_add_nc_u32_e32 v1, v1, v3
	s_delay_alu instid0(VALU_DEP_1) | instskip(NEXT) | instid1(VALU_DEP_1)
	v_add_nc_u32_e32 v1, v1, v4
	v_add_nc_u32_e32 v1, v1, v5
	ds_load_b128 v[2:5], v0 offset:64
	s_wait_dscnt 0x1
	v_add_nc_u32_e32 v1, v1, v6
	s_delay_alu instid0(VALU_DEP_1) | instskip(NEXT) | instid1(VALU_DEP_1)
	v_add_nc_u32_e32 v1, v1, v7
	v_add_nc_u32_e32 v1, v1, v8
	s_delay_alu instid0(VALU_DEP_1) | instskip(SKIP_3) | instid1(VALU_DEP_1)
	v_add_nc_u32_e32 v1, v1, v9
	ds_load_b128 v[6:9], v0 offset:80
	s_wait_dscnt 0x1
	v_add_nc_u32_e32 v1, v1, v2
	;; [unrolled: 15-line block ×15, first 2 shown]
	v_add_nc_u32_e32 v1, v1, v3
	s_delay_alu instid0(VALU_DEP_1) | instskip(NEXT) | instid1(VALU_DEP_1)
	v_add_nc_u32_e32 v1, v1, v4
	v_add_nc_u32_e32 v1, v1, v5
	s_wait_dscnt 0x0
	s_delay_alu instid0(VALU_DEP_1) | instskip(NEXT) | instid1(VALU_DEP_1)
	v_add_nc_u32_e32 v1, v1, v6
	v_add_nc_u32_e32 v1, v1, v7
	s_delay_alu instid0(VALU_DEP_1) | instskip(NEXT) | instid1(VALU_DEP_1)
	v_add_nc_u32_e32 v1, v1, v8
	v_add_nc_u32_e32 v1, v1, v9
	s_wait_kmcnt 0x0
	s_delay_alu instid0(VALU_DEP_1)
	v_cmp_lt_i32_e32 vcc_lo, s0, v1
	v_cndmask_b32_e64 v2, -1, -3, vcc_lo
	ds_store_b32 v0, v1
	global_store_b32 v0, v2, s[2:3]
.LBB12_14:
	s_endpgm
	.section	.rodata,"a",@progbits
	.p2align	6, 0x0
	.amdhsa_kernel _Z13kernel_filterfiPKiPKlPKtS4_S2_S0_PiS4_i
		.amdhsa_group_segment_fixed_size 512
		.amdhsa_private_segment_fixed_size 0
		.amdhsa_kernarg_size 76
		.amdhsa_user_sgpr_count 2
		.amdhsa_user_sgpr_dispatch_ptr 0
		.amdhsa_user_sgpr_queue_ptr 0
		.amdhsa_user_sgpr_kernarg_segment_ptr 1
		.amdhsa_user_sgpr_dispatch_id 0
		.amdhsa_user_sgpr_kernarg_preload_length 0
		.amdhsa_user_sgpr_kernarg_preload_offset 0
		.amdhsa_user_sgpr_private_segment_size 0
		.amdhsa_wavefront_size32 1
		.amdhsa_uses_dynamic_stack 0
		.amdhsa_enable_private_segment 0
		.amdhsa_system_sgpr_workgroup_id_x 1
		.amdhsa_system_sgpr_workgroup_id_y 0
		.amdhsa_system_sgpr_workgroup_id_z 0
		.amdhsa_system_sgpr_workgroup_info 0
		.amdhsa_system_vgpr_workitem_id 0
		.amdhsa_next_free_vgpr 16
		.amdhsa_next_free_sgpr 22
		.amdhsa_named_barrier_count 0
		.amdhsa_reserve_vcc 1
		.amdhsa_float_round_mode_32 0
		.amdhsa_float_round_mode_16_64 0
		.amdhsa_float_denorm_mode_32 3
		.amdhsa_float_denorm_mode_16_64 3
		.amdhsa_fp16_overflow 0
		.amdhsa_memory_ordered 1
		.amdhsa_forward_progress 1
		.amdhsa_inst_pref_size 15
		.amdhsa_round_robin_scheduling 0
		.amdhsa_exception_fp_ieee_invalid_op 0
		.amdhsa_exception_fp_denorm_src 0
		.amdhsa_exception_fp_ieee_div_zero 0
		.amdhsa_exception_fp_ieee_overflow 0
		.amdhsa_exception_fp_ieee_underflow 0
		.amdhsa_exception_fp_ieee_inexact 0
		.amdhsa_exception_int_div_zero 0
	.end_amdhsa_kernel
	.text
.Lfunc_end12:
	.size	_Z13kernel_filterfiPKiPKlPKtS4_S2_S0_PiS4_i, .Lfunc_end12-_Z13kernel_filterfiPKiPKlPKtS4_S2_S0_PiS4_i
                                        ; -- End function
	.set _Z13kernel_filterfiPKiPKlPKtS4_S2_S0_PiS4_i.num_vgpr, 16
	.set _Z13kernel_filterfiPKiPKlPKtS4_S2_S0_PiS4_i.num_agpr, 0
	.set _Z13kernel_filterfiPKiPKlPKtS4_S2_S0_PiS4_i.numbered_sgpr, 22
	.set _Z13kernel_filterfiPKiPKlPKtS4_S2_S0_PiS4_i.num_named_barrier, 0
	.set _Z13kernel_filterfiPKiPKlPKtS4_S2_S0_PiS4_i.private_seg_size, 0
	.set _Z13kernel_filterfiPKiPKlPKtS4_S2_S0_PiS4_i.uses_vcc, 1
	.set _Z13kernel_filterfiPKiPKlPKtS4_S2_S0_PiS4_i.uses_flat_scratch, 0
	.set _Z13kernel_filterfiPKiPKlPKtS4_S2_S0_PiS4_i.has_dyn_sized_stack, 0
	.set _Z13kernel_filterfiPKiPKlPKtS4_S2_S0_PiS4_i.has_recursion, 0
	.set _Z13kernel_filterfiPKiPKlPKtS4_S2_S0_PiS4_i.has_indirect_call, 0
	.section	.AMDGPU.csdata,"",@progbits
; Kernel info:
; codeLenInByte = 1912
; TotalNumSgprs: 24
; NumVgprs: 16
; ScratchSize: 0
; MemoryBound: 0
; FloatMode: 240
; IeeeMode: 1
; LDSByteSize: 512 bytes/workgroup (compile time only)
; SGPRBlocks: 0
; VGPRBlocks: 0
; NumSGPRsForWavesPerEU: 24
; NumVGPRsForWavesPerEU: 16
; NamedBarCnt: 0
; Occupancy: 16
; WaveLimiterHint : 1
; COMPUTE_PGM_RSRC2:SCRATCH_EN: 0
; COMPUTE_PGM_RSRC2:USER_SGPR: 2
; COMPUTE_PGM_RSRC2:TRAP_HANDLER: 0
; COMPUTE_PGM_RSRC2:TGID_X_EN: 1
; COMPUTE_PGM_RSRC2:TGID_Y_EN: 0
; COMPUTE_PGM_RSRC2:TGID_Z_EN: 0
; COMPUTE_PGM_RSRC2:TIDIG_COMP_CNT: 0
	.text
	.protected	_Z12kernel_alignfPKiPKlPKjS0_iPii ; -- Begin function _Z12kernel_alignfPKiPKlPKjS0_iPii
	.globl	_Z12kernel_alignfPKiPKlPKjS0_iPii
	.p2align	8
	.type	_Z12kernel_alignfPKiPKlPKjS0_iPii,@function
_Z12kernel_alignfPKiPKlPKjS0_iPii:      ; @_Z12kernel_alignfPKiPKlPKjS0_iPii
; %bb.0:
	s_clause 0x1
	s_load_b32 s2, s[0:1], 0x4c
	s_load_b32 s3, s[0:1], 0x38
	s_bfe_u32 s4, ttmp6, 0x4000c
	s_and_b32 s5, ttmp6, 15
	s_add_co_i32 s4, s4, 1
	s_getreg_b32 s6, hwreg(HW_REG_IB_STS2, 6, 4)
	s_mul_i32 s4, ttmp9, s4
	s_delay_alu instid0(SALU_CYCLE_1) | instskip(SKIP_4) | instid1(SALU_CYCLE_1)
	s_add_co_i32 s5, s5, s4
	s_wait_kmcnt 0x0
	s_and_b32 s2, s2, 0xffff
	s_cmp_eq_u32 s6, 0
	s_cselect_b32 s4, ttmp9, s5
	v_mad_u32 v0, s4, s2, v0
	s_mov_b32 s2, exec_lo
	s_delay_alu instid0(VALU_DEP_1)
	v_cmpx_gt_i32_e64 s3, v0
	s_cbranch_execz .LBB13_55
; %bb.1:
	s_load_b64 s[4:5], s[0:1], 0x30
	s_wait_kmcnt 0x0
	global_load_b32 v1, v0, s[4:5] scale_offset
	s_wait_loadcnt 0x0
	v_cmp_eq_u32_e32 vcc_lo, -3, v1
	s_and_b32 exec_lo, exec_lo, vcc_lo
	s_cbranch_execz .LBB13_55
; %bb.2:
	s_load_b256 s[16:23], s[0:1], 0x8
	v_ashrrev_i32_e32 v1, 31, v0
	s_load_b32 s24, s[0:1], 0x28
	s_delay_alu instid0(VALU_DEP_1) | instskip(SKIP_3) | instid1(VALU_DEP_2)
	v_lshlrev_b64_e32 v[2:3], 2, v[0:1]
	v_lshl_add_u64 v[52:53], v[0:1], 2, s[4:5]
	s_mov_b32 s4, 0
	s_wait_kmcnt 0x0
	v_add_nc_u64_e32 v[6:7], s[16:17], v[2:3]
	v_add_nc_u64_e32 v[8:9], s[22:23], v[2:3]
	v_lshl_add_u64 v[10:11], v[0:1], 3, s[18:19]
	s_ashr_i32 s25, s24, 31
	v_mov_b32_e32 v0, 0
	s_lshl_b64 s[2:3], s[24:25], 2
	s_lshl_b64 s[8:9], s[24:25], 3
	global_load_b32 v5, v[6:7], off
	global_load_b32 v4, v[8:9], off
	global_load_b64 v[2:3], v[10:11], off
	s_add_nc_u64 s[6:7], s[22:23], s[2:3]
	s_add_nc_u64 s[8:9], s[18:19], s[8:9]
	;; [unrolled: 1-line block ×3, first 2 shown]
	s_load_b32 s6, s[6:7], 0x0
	s_nop 0
	s_load_b64 s[2:3], s[8:9], 0x0
	s_wait_xcnt 0x0
	s_load_b32 s7, s[10:11], 0x0
.LBB13_3:                               ; =>This Inner Loop Header: Depth=1
	s_wait_xcnt 0x0
	s_mov_b32 s5, s4
	s_add_co_i32 s4, s4, 1
	scratch_store_b8 off, v0, s5
	s_cmp_lt_u32 s4, 0x1770
	s_cbranch_scc1 .LBB13_3
; %bb.4:
	s_wait_xcnt 0x0
	v_mov_b32_e32 v0, 0
	s_mov_b32 s4, 0
.LBB13_5:                               ; =>This Inner Loop Header: Depth=1
	s_wait_xcnt 0x0
	s_add_co_i32 s5, s4, 0x1770
	s_add_co_i32 s4, s4, 1
	scratch_store_b8 off, v0, s5
	s_cmp_lt_u32 s4, 0x1770
	s_cbranch_scc1 .LBB13_5
; %bb.6:
	s_wait_loadcnt 0x1
	v_sub_nc_u32_e32 v4, v5, v4
	s_delay_alu instid0(VALU_DEP_1)
	v_cmp_lt_i32_e32 vcc_lo, -16, v4
	s_wait_xcnt 0x0
	s_and_b32 exec_lo, exec_lo, vcc_lo
	s_cbranch_execz .LBB13_55
; %bb.7:
	s_load_b32 s4, s[0:1], 0x0
	s_wait_loadcnt 0x0
	v_dual_ashrrev_i32 v0, 31, v4 :: v_dual_ashrrev_i32 v6, 31, v3
	v_cvt_f32_i32_e32 v5, v5
	v_dual_mov_b32 v1, 0 :: v_dual_mov_b32 v17, 0
	s_delay_alu instid0(VALU_DEP_3)
	v_dual_lshrrev_b32 v7, 28, v0 :: v_dual_lshrrev_b32 v0, 28, v6
	s_wait_kmcnt 0x0
	s_sub_co_i32 s22, s7, s6
	s_ashr_i32 s0, s3, 31
	s_mov_b32 s17, 0
	v_add_nc_u32_e32 v6, v4, v7
	v_add_nc_u64_e32 v[2:3], v[2:3], v[0:1]
	s_lshr_b32 s16, s0, 28
	s_ashr_i32 s5, s22, 31
	s_add_nc_u64 s[0:1], s[2:3], s[16:17]
	s_lshr_b32 s2, s5, 28
	s_lshr_b64 s[18:19], s[0:1], 4
	s_add_co_i32 s0, s22, s2
	v_alignbit_b32 v55, v3, v2, 4
	v_dual_mul_f32 v5, s4, v5 :: v_dual_bitop2_b32 v0, -16, v6 bitop3:0x40
	v_ashrrev_i32_e32 v19, 4, v6
	s_ashr_i32 s19, s0, 4
	s_cmp_gt_i32 s22, -16
	s_delay_alu instid0(VALU_DEP_2) | instskip(SKIP_2) | instid1(VALU_DEP_2)
	v_ceil_f32_e32 v5, v5
	v_dual_sub_nc_u32 v54, v4, v0 :: v_dual_mov_b32 v18, v1
	s_cselect_b32 s23, -1, 0
	v_cvt_i32_f32_e32 v58, v5
	s_branch .LBB13_11
.LBB13_8:                               ;   in Loop: Header=BB13_11 Depth=1
	s_or_b32 exec_lo, exec_lo, s2
.LBB13_9:                               ;   in Loop: Header=BB13_11 Depth=1
	s_delay_alu instid0(VALU_DEP_1)
	v_cmp_ne_u32_e32 vcc_lo, 23, v4
	v_cndmask_b32_e32 v5, 0, v4, vcc_lo
.LBB13_10:                              ;   in Loop: Header=BB13_11 Depth=1
	s_or_b32 exec_lo, exec_lo, s1
	s_delay_alu instid0(VALU_DEP_1) | instskip(SKIP_3) | instid1(SALU_CYCLE_1)
	v_cmp_ne_u32_e32 vcc_lo, 0, v5
	v_cmp_ge_i32_e64 s0, v17, v19
	v_add_nc_u32_e32 v17, 1, v17
	s_or_b32 s0, vcc_lo, s0
	s_and_b32 s0, exec_lo, s0
	s_delay_alu instid0(SALU_CYCLE_1) | instskip(NEXT) | instid1(SALU_CYCLE_1)
	s_or_b32 s17, s0, s17
	s_and_not1_b32 exec_lo, exec_lo, s17
	s_cbranch_execz .LBB13_55
.LBB13_11:                              ; =>This Loop Header: Depth=1
                                        ;     Child Loop BB13_14 Depth 2
                                        ;       Child Loop BB13_16 Depth 3
                                        ;     Child Loop BB13_37 Depth 2
                                        ;       Child Loop BB13_39 Depth 3
	v_dual_mov_b32 v5, 8 :: v_dual_add_nc_u32 v2, v17, v55
	s_and_not1_b32 vcc_lo, exec_lo, s23
	s_delay_alu instid0(VALU_DEP_1) | instskip(NEXT) | instid1(VALU_DEP_1)
	v_ashrrev_i32_e32 v3, 31, v2
	v_lshl_add_u64 v[56:57], v[2:3], 2, s[20:21]
	s_cbranch_vccnz .LBB13_33
; %bb.12:                               ;   in Loop: Header=BB13_11 Depth=1
	global_load_b32 v59, v[56:57], off
	v_dual_mov_b32 v2, v1 :: v_dual_mov_b32 v3, v1
	v_dual_mov_b32 v4, v1 :: v_dual_mov_b32 v5, v1
	;; [unrolled: 1-line block ×8, first 2 shown]
	v_mov_b64_e32 v[50:51], v[30:31]
	v_mov_b64_e32 v[48:49], v[28:29]
	v_mov_b64_e32 v[46:47], v[26:27]
	v_mov_b64_e32 v[44:45], v[24:25]
	v_mov_b64_e32 v[42:43], v[22:23]
	v_mov_b64_e32 v[40:41], v[20:21]
	v_mov_b64_e32 v[38:39], v[18:19]
	v_mov_b64_e32 v[36:37], v[16:17]
	v_mov_b64_e32 v[34:35], v[14:15]
	v_mov_b64_e32 v[32:33], v[12:13]
	v_mov_b64_e32 v[30:31], v[10:11]
	v_mov_b64_e32 v[28:29], v[8:9]
	v_mov_b64_e32 v[26:27], v[6:7]
	v_mov_b64_e32 v[24:25], v[4:5]
	v_mov_b64_e32 v[22:23], v[2:3]
	v_mov_b64_e32 v[20:21], v[0:1]
	s_mov_b32 s25, 0
	s_mov_b32 s26, 0
	v_cmp_eq_u32_e32 vcc_lo, v17, v19
	s_wait_loadcnt 0x0
	v_dual_lshrrev_b32 v60, 30, v59 :: v_dual_lshrrev_b32 v61, 28, v59
	v_dual_lshrrev_b32 v62, 26, v59 :: v_dual_lshrrev_b32 v63, 24, v59
	;; [unrolled: 1-line block ×7, first 2 shown]
	v_lshrrev_b32_e32 v74, 2, v59
	s_branch .LBB13_14
.LBB13_13:                              ;   in Loop: Header=BB13_14 Depth=2
	s_or_b32 exec_lo, exec_lo, s2
	s_delay_alu instid0(SALU_CYCLE_1) | instskip(NEXT) | instid1(SALU_CYCLE_1)
	s_and_b32 s0, exec_lo, s1
	s_or_b32 s25, s0, s25
	s_delay_alu instid0(SALU_CYCLE_1)
	s_and_not1_b32 exec_lo, exec_lo, s25
	s_cbranch_execz .LBB13_32
.LBB13_14:                              ;   Parent Loop BB13_11 Depth=1
                                        ; =>  This Loop Header: Depth=2
                                        ;       Child Loop BB13_16 Depth 3
	s_add_co_i32 s0, s26, s18
	s_mov_b32 s27, 0
	v_dual_mov_b32 v2, s0 :: v_dual_mov_b32 v4, 30
	scratch_load_i16 v0, v75, off offset:6000 scale_offset
	global_load_b32 v2, v2, s[20:21] scale_offset
	s_branch .LBB13_16
.LBB13_15:                              ;   in Loop: Header=BB13_16 Depth=3
	s_or_b32 exec_lo, exec_lo, s2
	s_delay_alu instid0(SALU_CYCLE_1) | instskip(NEXT) | instid1(SALU_CYCLE_1)
	s_and_b32 s0, exec_lo, s0
	s_or_b32 s27, s0, s27
	s_delay_alu instid0(SALU_CYCLE_1)
	s_and_not1_b32 exec_lo, exec_lo, s27
	s_cbranch_execz .LBB13_30
.LBB13_16:                              ;   Parent Loop BB13_11 Depth=1
                                        ;     Parent Loop BB13_14 Depth=2
                                        ; =>    This Inner Loop Header: Depth=3
	scratch_load_i16 v40, v75, off offset:6002 scale_offset
	s_wait_loadcnt 0x1
	v_bfe_u32 v3, v2, v4, 2
                                        ; implicit-def: $vgpr6
	s_delay_alu instid0(VALU_DEP_1) | instskip(SKIP_1) | instid1(VALU_DEP_1)
	v_cmp_eq_u32_e64 s0, v60, v3
	v_lshrrev_b32_e32 v3, v4, v2
	v_bitop3_b32 v5, v61, 3, v3 bitop3:0x48
	s_delay_alu instid0(VALU_DEP_1) | instskip(SKIP_1) | instid1(VALU_DEP_1)
	v_cmp_eq_u32_e64 s1, 0, v5
	v_bitop3_b32 v5, v62, 3, v3 bitop3:0x48
	v_cmp_eq_u32_e64 s2, 0, v5
	v_bitop3_b32 v5, v63, 3, v3 bitop3:0x48
	s_delay_alu instid0(VALU_DEP_1) | instskip(SKIP_1) | instid1(VALU_DEP_1)
	v_cmp_eq_u32_e64 s3, 0, v5
	v_bitop3_b32 v5, v64, 3, v3 bitop3:0x48
	v_cmp_eq_u32_e64 s4, 0, v5
	;; [unrolled: 5-line block ×6, first 2 shown]
	v_bitop3_b32 v5, v73, 3, v3 bitop3:0x48
	s_delay_alu instid0(VALU_DEP_1) | instskip(SKIP_2) | instid1(VALU_DEP_2)
	v_cmp_eq_u32_e64 s13, 0, v5
	v_bitop3_b32 v5, v74, 3, v3 bitop3:0x48
	v_bitop3_b32 v3, v59, 3, v3 bitop3:0x48
	v_cmp_eq_u32_e64 s14, 0, v5
	s_delay_alu instid0(VALU_DEP_2) | instskip(SKIP_1) | instid1(VALU_DEP_1)
	v_cmp_eq_u32_e64 s15, 0, v3
	v_add_nc_u32_e32 v3, 1, v75
                                        ; implicit-def: $vgpr5
	v_cmp_ne_u32_e64 s16, s22, v3
	v_add_co_ci_u32_e64 v3, null, 0, v0, s0
	s_wait_loadcnt 0x0
	s_delay_alu instid0(VALU_DEP_1) | instskip(SKIP_1) | instid1(VALU_DEP_1)
	v_max3_i32 v41, v3, v40, v21
	v_add_co_ci_u32_e64 v3, null, 0, v21, s1
                                        ; implicit-def: $sgpr1
	v_max3_i32 v39, v3, v41, v22
	v_add_co_ci_u32_e64 v3, null, 0, v22, s2
	s_delay_alu instid0(VALU_DEP_1) | instskip(SKIP_4) | instid1(VALU_DEP_1)
	v_max3_i32 v38, v3, v39, v23
	v_add_co_ci_u32_e64 v3, null, 0, v23, s3
	s_mov_b32 s3, 0
	v_max3_i32 v37, v3, v38, v24
	v_add_co_ci_u32_e64 v3, null, 0, v24, s4
	v_max3_i32 v20, v3, v37, v25
	v_add_co_ci_u32_e64 v3, null, 0, v25, s5
	s_delay_alu instid0(VALU_DEP_1) | instskip(SKIP_1) | instid1(VALU_DEP_1)
	v_max3_i32 v16, v3, v20, v26
	v_add_co_ci_u32_e64 v3, null, 0, v26, s6
	v_max3_i32 v15, v3, v16, v27
	v_add_co_ci_u32_e64 v3, null, 0, v27, s7
	s_delay_alu instid0(VALU_DEP_1) | instskip(SKIP_1) | instid1(VALU_DEP_1)
	v_max3_i32 v14, v3, v15, v28
	v_add_co_ci_u32_e64 v3, null, 0, v28, s8
	v_max3_i32 v13, v3, v14, v29
	v_add_co_ci_u32_e64 v3, null, 0, v29, s9
	s_delay_alu instid0(VALU_DEP_1) | instskip(SKIP_1) | instid1(VALU_DEP_1)
	v_max3_i32 v12, v3, v13, v30
	v_add_co_ci_u32_e64 v3, null, 0, v30, s10
	v_max3_i32 v11, v3, v12, v31
	v_add_co_ci_u32_e64 v3, null, 0, v31, s11
	s_delay_alu instid0(VALU_DEP_1) | instskip(SKIP_1) | instid1(VALU_DEP_1)
	v_max3_i32 v10, v3, v11, v32
	v_add_co_ci_u32_e64 v3, null, 0, v32, s12
	v_max3_i32 v9, v3, v10, v33
	v_add_co_ci_u32_e64 v3, null, 0, v33, s13
	s_delay_alu instid0(VALU_DEP_1) | instskip(SKIP_1) | instid1(VALU_DEP_1)
	v_max3_i32 v8, v3, v9, v34
	v_add_co_ci_u32_e64 v3, null, 0, v34, s14
	v_max3_i32 v7, v3, v8, v35
	v_add_co_ci_u32_e64 v3, null, 0, v35, s15
	s_delay_alu instid0(VALU_DEP_1) | instskip(SKIP_3) | instid1(SALU_CYCLE_1)
	v_max3_i32 v42, v3, v7, v36
                                        ; implicit-def: $vgpr3
	scratch_store_b16 v75, v42, off offset:2 scale_offset
	s_wait_xcnt 0x0
	s_and_saveexec_b32 s0, s16
	s_xor_b32 s2, exec_lo, s0
	s_cbranch_execz .LBB13_26
; %bb.17:                               ;   in Loop: Header=BB13_16 Depth=3
	v_dual_lshlrev_b32 v5, 1, v75 :: v_dual_add_nc_u32 v3, -2, v4
	s_mov_b32 s4, 0
	s_mov_b32 s1, -1
	s_mov_b32 s3, exec_lo
	s_delay_alu instid0(VALU_DEP_1)
	v_add_nc_u32_e32 v0, 0x1770, v5
	v_bfe_u32 v6, v2, v3, 2
	v_dual_lshrrev_b32 v4, v3, v2 :: v_dual_add_nc_u32 v75, 2, v75
	scratch_load_i16 v0, v0, off offset:4
	v_cmp_eq_u32_e64 s0, v60, v6
	v_bitop3_b32 v21, v61, 3, v4 bitop3:0x48
	s_delay_alu instid0(VALU_DEP_2) | instskip(NEXT) | instid1(VALU_DEP_2)
	v_add_co_ci_u32_e64 v6, null, 0, v40, s0
	v_cmp_eq_u32_e64 s0, 0, v21
	s_delay_alu instid0(VALU_DEP_1) | instskip(SKIP_1) | instid1(VALU_DEP_3)
	v_add_co_ci_u32_e64 v22, null, 0, v41, s0
	s_wait_loadcnt 0x0
	v_max3_i32 v21, v6, v0, v41
	v_bitop3_b32 v6, v62, 3, v4 bitop3:0x48
	s_delay_alu instid0(VALU_DEP_2) | instskip(NEXT) | instid1(VALU_DEP_2)
	v_max3_i32 v22, v22, v21, v39
	v_cmp_eq_u32_e64 s0, 0, v6
	s_delay_alu instid0(VALU_DEP_1) | instskip(NEXT) | instid1(VALU_DEP_1)
	v_add_co_ci_u32_e64 v6, null, 0, v39, s0
	v_max3_i32 v23, v6, v22, v38
	v_bitop3_b32 v6, v63, 3, v4 bitop3:0x48
	s_delay_alu instid0(VALU_DEP_1) | instskip(NEXT) | instid1(VALU_DEP_1)
	v_cmp_eq_u32_e64 s0, 0, v6
	v_add_co_ci_u32_e64 v6, null, 0, v38, s0
	s_delay_alu instid0(VALU_DEP_1) | instskip(SKIP_1) | instid1(VALU_DEP_1)
	v_max3_i32 v24, v6, v23, v37
	v_bitop3_b32 v6, v64, 3, v4 bitop3:0x48
	v_cmp_eq_u32_e64 s0, 0, v6
	s_delay_alu instid0(VALU_DEP_1) | instskip(NEXT) | instid1(VALU_DEP_1)
	v_add_co_ci_u32_e64 v6, null, 0, v37, s0
	v_max3_i32 v25, v6, v24, v20
	v_bitop3_b32 v6, v65, 3, v4 bitop3:0x48
	s_delay_alu instid0(VALU_DEP_1) | instskip(NEXT) | instid1(VALU_DEP_1)
	v_cmp_eq_u32_e64 s0, 0, v6
	v_add_co_ci_u32_e64 v6, null, 0, v20, s0
	s_delay_alu instid0(VALU_DEP_1) | instskip(SKIP_1) | instid1(VALU_DEP_1)
	v_max3_i32 v26, v6, v25, v16
	v_bitop3_b32 v6, v66, 3, v4 bitop3:0x48
	;; [unrolled: 11-line block ×5, first 2 shown]
	v_cmp_eq_u32_e64 s0, 0, v6
	s_delay_alu instid0(VALU_DEP_1) | instskip(NEXT) | instid1(VALU_DEP_1)
	v_add_co_ci_u32_e64 v6, null, 0, v10, s0
	v_max3_i32 v33, v6, v32, v9
	v_bitop3_b32 v6, v73, 3, v4 bitop3:0x48
	s_delay_alu instid0(VALU_DEP_1) | instskip(NEXT) | instid1(VALU_DEP_1)
	v_cmp_eq_u32_e64 s0, 0, v6
	v_add_co_ci_u32_e64 v6, null, 0, v9, s0
	s_delay_alu instid0(VALU_DEP_1) | instskip(SKIP_2) | instid1(VALU_DEP_2)
	v_max3_i32 v34, v6, v33, v8
	v_bitop3_b32 v6, v74, 3, v4 bitop3:0x48
	v_bitop3_b32 v4, v59, 3, v4 bitop3:0x48
	v_cmp_eq_u32_e64 s0, 0, v6
	s_delay_alu instid0(VALU_DEP_1) | instskip(NEXT) | instid1(VALU_DEP_3)
	v_add_co_ci_u32_e64 v6, null, 0, v8, s0
	v_cmp_eq_u32_e64 s0, 0, v4
	s_delay_alu instid0(VALU_DEP_2) | instskip(NEXT) | instid1(VALU_DEP_2)
	v_max3_i32 v35, v6, v34, v7
                                        ; implicit-def: $vgpr6
	v_add_co_ci_u32_e64 v4, null, 0, v7, s0
	s_delay_alu instid0(VALU_DEP_1)
	v_max3_i32 v36, v4, v35, v42
	v_dual_mov_b32 v4, v5 :: v_dual_mov_b32 v5, 0
	scratch_store_b16 v4, v36, off offset:4
	s_wait_xcnt 0x0
	v_cmpx_eq_u32_e64 s22, v75
	s_cbranch_execz .LBB13_21
; %bb.18:                               ;   in Loop: Header=BB13_16 Depth=3
                                        ; implicit-def: $vgpr6
	s_and_saveexec_b32 s0, vcc_lo
	s_delay_alu instid0(SALU_CYCLE_1)
	s_xor_b32 s1, exec_lo, s0
	s_cbranch_execz .LBB13_20
; %bb.19:                               ;   in Loop: Header=BB13_16 Depth=3
	v_cmp_eq_u32_e64 s0, 1, v54
	s_mov_b32 s4, exec_lo
	v_cndmask_b32_e64 v4, v0, v21, s0
	v_cmp_eq_u32_e64 s0, 2, v54
	s_delay_alu instid0(VALU_DEP_1) | instskip(SKIP_1) | instid1(VALU_DEP_1)
	v_cndmask_b32_e64 v4, v4, v22, s0
	v_cmp_eq_u32_e64 s0, 3, v54
	v_cndmask_b32_e64 v4, v4, v23, s0
	v_cmp_eq_u32_e64 s0, 4, v54
	s_delay_alu instid0(VALU_DEP_1) | instskip(SKIP_1) | instid1(VALU_DEP_1)
	v_cndmask_b32_e64 v4, v4, v24, s0
	v_cmp_eq_u32_e64 s0, 5, v54
	;; [unrolled: 5-line block ×7, first 2 shown]
	v_cndmask_b32_e64 v4, v4, v35, s0
	v_cmp_eq_u32_e64 s0, 16, v54
	s_delay_alu instid0(VALU_DEP_1)
	v_cndmask_b32_e64 v6, v4, v36, s0
.LBB13_20:                              ;   in Loop: Header=BB13_16 Depth=3
	s_or_b32 exec_lo, exec_lo, s1
	v_dual_mov_b32 v5, 11 :: v_dual_mov_b32 v75, s22
	s_xor_b32 s1, exec_lo, -1
	s_and_b32 s4, s4, exec_lo
.LBB13_21:                              ;   in Loop: Header=BB13_16 Depth=3
	s_or_b32 exec_lo, exec_lo, s3
	s_delay_alu instid0(SALU_CYCLE_1)
	s_and_b32 s3, s4, exec_lo
                                        ; implicit-def: $vgpr4
                                        ; implicit-def: $vgpr40
                                        ; implicit-def: $vgpr41
                                        ; implicit-def: $vgpr39
                                        ; implicit-def: $vgpr38
                                        ; implicit-def: $vgpr37
                                        ; implicit-def: $vgpr20
                                        ; implicit-def: $vgpr16
                                        ; implicit-def: $vgpr15
                                        ; implicit-def: $vgpr14
                                        ; implicit-def: $vgpr13
                                        ; implicit-def: $vgpr12
                                        ; implicit-def: $vgpr11
                                        ; implicit-def: $vgpr10
                                        ; implicit-def: $vgpr9
                                        ; implicit-def: $vgpr8
                                        ; implicit-def: $vgpr7
	s_and_not1_saveexec_b32 s2, s2
	s_cbranch_execnz .LBB13_27
.LBB13_22:                              ;   in Loop: Header=BB13_16 Depth=3
	s_or_b32 exec_lo, exec_lo, s2
	s_and_saveexec_b32 s2, s3
	s_cbranch_execz .LBB13_24
.LBB13_23:                              ;   in Loop: Header=BB13_16 Depth=3
	v_cmp_ge_i32_e64 s0, v6, v58
	v_dual_mov_b32 v5, 1 :: v_dual_mov_b32 v75, s22
	s_and_not1_b32 s1, s1, exec_lo
	v_cndmask_b32_e64 v4, -1, s24, s0
	global_store_b32 v[52:53], v4, off
.LBB13_24:                              ;   in Loop: Header=BB13_16 Depth=3
	s_wait_xcnt 0x0
	s_or_b32 exec_lo, exec_lo, s2
	s_mov_b32 s0, -1
                                        ; implicit-def: $vgpr4
	s_and_saveexec_b32 s2, s1
	s_cbranch_execz .LBB13_15
; %bb.25:                               ;   in Loop: Header=BB13_16 Depth=3
	v_cmp_gt_i32_e64 s0, 2, v3
	v_dual_mov_b32 v5, 11 :: v_dual_add_nc_u32 v4, -2, v3
	s_or_not1_b32 s0, s0, exec_lo
	s_branch .LBB13_15
.LBB13_26:                              ;   in Loop: Header=BB13_16 Depth=3
	s_and_not1_saveexec_b32 s2, s2
	s_cbranch_execz .LBB13_22
.LBB13_27:                              ;   in Loop: Header=BB13_16 Depth=3
	s_mov_b32 s0, s3
                                        ; implicit-def: $vgpr6
	s_and_saveexec_b32 s4, vcc_lo
	s_cbranch_execz .LBB13_29
; %bb.28:                               ;   in Loop: Header=BB13_16 Depth=3
	v_cmp_eq_u32_e64 s0, 1, v54
	s_delay_alu instid0(VALU_DEP_1) | instskip(SKIP_1) | instid1(VALU_DEP_1)
	v_cndmask_b32_e64 v3, v40, v41, s0
	v_cmp_eq_u32_e64 s0, 2, v54
	v_cndmask_b32_e64 v3, v3, v39, s0
	v_cmp_eq_u32_e64 s0, 3, v54
	s_delay_alu instid0(VALU_DEP_1) | instskip(SKIP_1) | instid1(VALU_DEP_1)
	v_cndmask_b32_e64 v3, v3, v38, s0
	v_cmp_eq_u32_e64 s0, 4, v54
	v_cndmask_b32_e64 v3, v3, v37, s0
	v_cmp_eq_u32_e64 s0, 5, v54
	s_delay_alu instid0(VALU_DEP_1) | instskip(SKIP_1) | instid1(VALU_DEP_1)
	v_cndmask_b32_e64 v3, v3, v20, s0
	v_cmp_eq_u32_e64 s0, 6, v54
	v_cndmask_b32_e64 v3, v3, v16, s0
	v_cmp_eq_u32_e64 s0, 7, v54
	s_delay_alu instid0(VALU_DEP_1) | instskip(SKIP_1) | instid1(VALU_DEP_1)
	v_cndmask_b32_e64 v3, v3, v15, s0
	v_cmp_eq_u32_e64 s0, 8, v54
	v_cndmask_b32_e64 v3, v3, v14, s0
	v_cmp_eq_u32_e64 s0, 9, v54
	s_delay_alu instid0(VALU_DEP_1) | instskip(SKIP_1) | instid1(VALU_DEP_1)
	v_cndmask_b32_e64 v3, v3, v13, s0
	v_cmp_eq_u32_e64 s0, 10, v54
	v_cndmask_b32_e64 v3, v3, v12, s0
	v_cmp_eq_u32_e64 s0, 11, v54
	s_delay_alu instid0(VALU_DEP_1) | instskip(SKIP_1) | instid1(VALU_DEP_1)
	v_cndmask_b32_e64 v3, v3, v11, s0
	v_cmp_eq_u32_e64 s0, 12, v54
	v_cndmask_b32_e64 v3, v3, v10, s0
	v_cmp_eq_u32_e64 s0, 13, v54
	s_delay_alu instid0(VALU_DEP_1) | instskip(SKIP_1) | instid1(VALU_DEP_1)
	v_cndmask_b32_e64 v3, v3, v9, s0
	v_cmp_eq_u32_e64 s0, 14, v54
	v_cndmask_b32_e64 v3, v3, v8, s0
	v_cmp_eq_u32_e64 s0, 15, v54
	s_delay_alu instid0(VALU_DEP_1) | instskip(SKIP_1) | instid1(VALU_DEP_1)
	v_cndmask_b32_e64 v3, v3, v7, s0
	v_cmp_eq_u32_e64 s0, 16, v54
	v_cndmask_b32_e64 v6, v3, v18, s0
	s_or_b32 s0, s3, exec_lo
.LBB13_29:                              ;   in Loop: Header=BB13_16 Depth=3
	s_or_b32 exec_lo, exec_lo, s4
	v_dual_mov_b32 v5, 11 :: v_dual_mov_b32 v75, s22
	v_mov_b32_e32 v3, v4
	s_and_not1_b32 s3, s3, exec_lo
	s_and_b32 s0, s0, exec_lo
	s_and_not1_b32 s1, s1, exec_lo
	s_or_b32 s3, s3, s0
	s_or_b32 exec_lo, exec_lo, s2
	s_and_saveexec_b32 s2, s3
	s_cbranch_execz .LBB13_24
	s_branch .LBB13_23
.LBB13_30:                              ;   in Loop: Header=BB13_14 Depth=2
	s_or_b32 exec_lo, exec_lo, s27
	s_mov_b32 s1, -1
	s_mov_b32 s2, exec_lo
	v_cmpx_eq_u32_e32 11, v5
	s_cbranch_execz .LBB13_13
; %bb.31:                               ;   in Loop: Header=BB13_14 Depth=2
	s_add_co_i32 s0, s26, 1
	s_cmp_eq_u32 s26, s19
	v_mov_b32_e32 v5, 8
	s_cselect_b32 s1, -1, 0
	s_mov_b32 s26, s0
	s_or_not1_b32 s1, s1, exec_lo
	s_branch .LBB13_13
.LBB13_32:                              ;   in Loop: Header=BB13_11 Depth=1
	s_or_b32 exec_lo, exec_lo, s25
.LBB13_33:                              ;   in Loop: Header=BB13_11 Depth=1
	s_delay_alu instid0(SALU_CYCLE_1)
	s_mov_b32 s1, exec_lo
	v_cmpx_eq_u32_e32 8, v5
	s_cbranch_execz .LBB13_10
; %bb.34:                               ;   in Loop: Header=BB13_11 Depth=1
	v_dual_mov_b32 v4, 23 :: v_dual_add_nc_u32 v17, 1, v17
	s_and_not1_b32 vcc_lo, exec_lo, s23
	s_cbranch_vccnz .LBB13_9
; %bb.35:                               ;   in Loop: Header=BB13_11 Depth=1
	global_load_b32 v56, v[56:57], off offset:4
	v_dual_mov_b32 v0, v1 :: v_dual_mov_b32 v2, v1
	v_dual_mov_b32 v3, v1 :: v_dual_mov_b32 v4, v1
	;; [unrolled: 1-line block ×8, first 2 shown]
	v_mov_b64_e32 v[50:51], v[30:31]
	v_mov_b64_e32 v[48:49], v[28:29]
	;; [unrolled: 1-line block ×16, first 2 shown]
	v_mov_b32_e32 v73, 0
	s_mov_b32 s2, 0
	s_mov_b32 s3, 0
	v_cmp_eq_u32_e32 vcc_lo, v17, v19
	s_wait_loadcnt 0x0
	v_dual_lshrrev_b32 v57, 30, v56 :: v_dual_lshrrev_b32 v59, 28, v56
	v_dual_lshrrev_b32 v60, 26, v56 :: v_dual_lshrrev_b32 v61, 24, v56
	;; [unrolled: 1-line block ×7, first 2 shown]
	v_lshrrev_b32_e32 v72, 2, v56
	s_branch .LBB13_37
.LBB13_36:                              ;   in Loop: Header=BB13_37 Depth=2
	s_or_b32 exec_lo, exec_lo, s5
	s_delay_alu instid0(SALU_CYCLE_1) | instskip(NEXT) | instid1(SALU_CYCLE_1)
	s_and_b32 s0, exec_lo, s4
	s_or_b32 s2, s0, s2
	s_delay_alu instid0(SALU_CYCLE_1)
	s_and_not1_b32 exec_lo, exec_lo, s2
	s_cbranch_execz .LBB13_8
.LBB13_37:                              ;   Parent Loop BB13_11 Depth=1
                                        ; =>  This Loop Header: Depth=2
                                        ;       Child Loop BB13_39 Depth 3
	s_add_co_i32 s0, s3, s18
	s_mov_b32 s4, 0
	v_dual_mov_b32 v0, s0 :: v_dual_mov_b32 v3, 30
	global_load_b32 v0, v0, s[20:21] scale_offset
	s_branch .LBB13_39
.LBB13_38:                              ;   in Loop: Header=BB13_39 Depth=3
	s_or_b32 exec_lo, exec_lo, s5
	s_delay_alu instid0(SALU_CYCLE_1) | instskip(NEXT) | instid1(SALU_CYCLE_1)
	s_and_b32 s0, exec_lo, s0
	s_or_b32 s4, s0, s4
	s_delay_alu instid0(SALU_CYCLE_1)
	s_and_not1_b32 exec_lo, exec_lo, s4
	s_cbranch_execz .LBB13_53
.LBB13_39:                              ;   Parent Loop BB13_11 Depth=1
                                        ;     Parent Loop BB13_37 Depth=2
                                        ; =>    This Inner Loop Header: Depth=3
	scratch_load_i16 v9, v73, off offset:2 scale_offset
	s_wait_loadcnt 0x1
	v_lshrrev_b32_e32 v2, v3, v0
	v_bfe_u32 v4, v0, v3, 2
	s_mov_b32 s7, 0
                                        ; implicit-def: $sgpr6
                                        ; implicit-def: $vgpr41
	s_delay_alu instid0(VALU_DEP_2) | instskip(NEXT) | instid1(VALU_DEP_2)
	v_bitop3_b32 v5, v59, 3, v2 bitop3:0x48
	v_cmp_eq_u32_e64 s0, v57, v4
	v_bitop3_b32 v6, v60, 3, v2 bitop3:0x48
	s_delay_alu instid0(VALU_DEP_2) | instskip(NEXT) | instid1(VALU_DEP_4)
	v_add_co_ci_u32_e64 v4, null, 0, v20, s0
	v_cmp_eq_u32_e64 s0, 0, v5
	s_delay_alu instid0(VALU_DEP_1) | instskip(NEXT) | instid1(VALU_DEP_4)
	v_add_co_ci_u32_e64 v5, null, 0, v21, s0
	v_cmp_eq_u32_e64 s0, 0, v6
	s_delay_alu instid0(VALU_DEP_1) | instskip(SKIP_3) | instid1(VALU_DEP_2)
	v_add_co_ci_u32_e64 v6, null, 0, v22, s0
	s_wait_loadcnt 0x0
	v_max3_i32 v40, v4, v9, v21
	v_bitop3_b32 v4, v61, 3, v2 bitop3:0x48
	v_max3_i32 v39, v5, v40, v22
	v_bitop3_b32 v5, v62, 3, v2 bitop3:0x48
	s_delay_alu instid0(VALU_DEP_3) | instskip(NEXT) | instid1(VALU_DEP_3)
	v_cmp_eq_u32_e64 s0, 0, v4
	v_max3_i32 v38, v6, v39, v23
	v_bitop3_b32 v6, v63, 3, v2 bitop3:0x48
	s_delay_alu instid0(VALU_DEP_3) | instskip(SKIP_1) | instid1(VALU_DEP_2)
	v_add_co_ci_u32_e64 v4, null, 0, v23, s0
	v_cmp_eq_u32_e64 s0, 0, v5
	v_max3_i32 v37, v4, v38, v24
	v_bitop3_b32 v4, v64, 3, v2 bitop3:0x48
	s_delay_alu instid0(VALU_DEP_3) | instskip(SKIP_1) | instid1(VALU_DEP_2)
	v_add_co_ci_u32_e64 v5, null, 0, v24, s0
	;; [unrolled: 5-line block ×10, first 2 shown]
	v_cmp_eq_u32_e64 s0, 0, v5
	v_max3_i32 v7, v4, v8, v33
	s_delay_alu instid0(VALU_DEP_2) | instskip(SKIP_1) | instid1(VALU_DEP_2)
	v_add_co_ci_u32_e64 v5, null, 0, v33, s0
	v_cmp_eq_u32_e64 s0, 0, v6
	v_max3_i32 v6, v5, v7, v34
	s_delay_alu instid0(VALU_DEP_2) | instskip(NEXT) | instid1(VALU_DEP_1)
	v_add_co_ci_u32_e64 v4, null, 0, v34, s0
	v_max3_i32 v5, v4, v6, v35
	v_add_nc_u32_e32 v4, 1, v73
	v_bitop3_b32 v2, v56, 3, v2 bitop3:0x48
	s_delay_alu instid0(VALU_DEP_1) | instskip(NEXT) | instid1(VALU_DEP_1)
	v_cmp_eq_u32_e64 s0, 0, v2
	v_add_co_ci_u32_e64 v2, null, 0, v35, s0
	s_delay_alu instid0(VALU_DEP_4) | instskip(NEXT) | instid1(VALU_DEP_2)
	v_cmp_ne_u32_e64 s0, s22, v4
                                        ; implicit-def: $vgpr4
	v_max3_i32 v42, v2, v5, v36
                                        ; implicit-def: $vgpr2
	scratch_store_b16 v73, v42, off offset:6002 scale_offset
	s_wait_xcnt 0x0
	s_and_saveexec_b32 s5, s0
	s_delay_alu instid0(SALU_CYCLE_1)
	s_xor_b32 s5, exec_lo, s5
	s_cbranch_execz .LBB13_49
; %bb.40:                               ;   in Loop: Header=BB13_39 Depth=3
	v_lshlrev_b32_e32 v4, 1, v73
	s_mov_b32 s8, 0
	s_mov_b32 s6, -1
	s_mov_b32 s7, exec_lo
                                        ; implicit-def: $vgpr41
	s_delay_alu instid0(VALU_DEP_1) | instskip(SKIP_3) | instid1(VALU_DEP_1)
	v_dual_mov_b32 v2, v4 :: v_dual_add_nc_u32 v73, 2, v73
	scratch_load_i16 v20, v2, off offset:4
	s_wait_xcnt 0x0
	v_add_nc_u32_e32 v2, -2, v3
	v_lshrrev_b32_e32 v3, v2, v0
	v_bfe_u32 v21, v0, v2, 2
	s_delay_alu instid0(VALU_DEP_2) | instskip(NEXT) | instid1(VALU_DEP_2)
	v_bitop3_b32 v22, v59, 3, v3 bitop3:0x48
	v_cmp_eq_u32_e64 s0, v57, v21
	v_bitop3_b32 v23, v60, 3, v3 bitop3:0x48
	v_bitop3_b32 v24, v62, 3, v3 bitop3:0x48
	;; [unrolled: 1-line block ×3, first 2 shown]
	s_delay_alu instid0(VALU_DEP_4) | instskip(SKIP_1) | instid1(VALU_DEP_1)
	v_add_co_ci_u32_e64 v9, null, 0, v9, s0
	v_cmp_eq_u32_e64 s0, 0, v22
	v_add_co_ci_u32_e64 v22, null, 0, v40, s0
	v_cmp_eq_u32_e64 s0, 0, v23
	s_delay_alu instid0(VALU_DEP_1) | instskip(SKIP_3) | instid1(VALU_DEP_2)
	v_add_co_ci_u32_e64 v23, null, 0, v39, s0
	s_wait_loadcnt 0x0
	v_max3_i32 v21, v9, v20, v40
	v_bitop3_b32 v9, v61, 3, v3 bitop3:0x48
	v_max3_i32 v22, v22, v21, v39
	s_delay_alu instid0(VALU_DEP_2) | instskip(NEXT) | instid1(VALU_DEP_2)
	v_cmp_eq_u32_e64 s0, 0, v9
	v_max3_i32 v23, v23, v22, v38
	s_delay_alu instid0(VALU_DEP_2) | instskip(SKIP_1) | instid1(VALU_DEP_2)
	v_add_co_ci_u32_e64 v9, null, 0, v38, s0
	v_cmp_eq_u32_e64 s0, 0, v24
	v_max3_i32 v24, v9, v23, v37
	v_bitop3_b32 v9, v64, 3, v3 bitop3:0x48
	s_delay_alu instid0(VALU_DEP_3) | instskip(SKIP_1) | instid1(VALU_DEP_2)
	v_add_co_ci_u32_e64 v26, null, 0, v37, s0
	v_cmp_eq_u32_e64 s0, 0, v25
	v_max3_i32 v25, v26, v24, v16
	s_delay_alu instid0(VALU_DEP_2) | instskip(SKIP_2) | instid1(VALU_DEP_3)
	v_add_co_ci_u32_e64 v27, null, 0, v16, s0
	v_bitop3_b32 v16, v65, 3, v3 bitop3:0x48
	v_cmp_eq_u32_e64 s0, 0, v9
	v_max3_i32 v26, v27, v25, v15
	s_delay_alu instid0(VALU_DEP_2) | instskip(SKIP_2) | instid1(VALU_DEP_3)
	v_add_co_ci_u32_e64 v9, null, 0, v15, s0
	v_bitop3_b32 v15, v66, 3, v3 bitop3:0x48
	v_cmp_eq_u32_e64 s0, 0, v16
	v_max3_i32 v27, v9, v26, v14
	v_bitop3_b32 v9, v67, 3, v3 bitop3:0x48
	s_delay_alu instid0(VALU_DEP_3) | instskip(SKIP_1) | instid1(VALU_DEP_2)
	v_add_co_ci_u32_e64 v16, null, 0, v14, s0
	v_cmp_eq_u32_e64 s0, 0, v15
	v_max3_i32 v28, v16, v27, v13
	s_delay_alu instid0(VALU_DEP_2) | instskip(SKIP_2) | instid1(VALU_DEP_3)
	v_add_co_ci_u32_e64 v14, null, 0, v13, s0
	v_bitop3_b32 v13, v68, 3, v3 bitop3:0x48
	v_cmp_eq_u32_e64 s0, 0, v9
	v_max3_i32 v29, v14, v28, v12
	s_delay_alu instid0(VALU_DEP_2) | instskip(SKIP_2) | instid1(VALU_DEP_3)
	v_add_co_ci_u32_e64 v9, null, 0, v12, s0
	v_bitop3_b32 v12, v69, 3, v3 bitop3:0x48
	v_cmp_eq_u32_e64 s0, 0, v13
	v_max3_i32 v30, v9, v29, v11
	v_bitop3_b32 v9, v70, 3, v3 bitop3:0x48
	s_delay_alu instid0(VALU_DEP_3) | instskip(SKIP_1) | instid1(VALU_DEP_2)
	v_add_co_ci_u32_e64 v13, null, 0, v11, s0
	v_cmp_eq_u32_e64 s0, 0, v12
	v_max3_i32 v31, v13, v30, v10
	s_delay_alu instid0(VALU_DEP_2) | instskip(SKIP_2) | instid1(VALU_DEP_3)
	v_add_co_ci_u32_e64 v11, null, 0, v10, s0
	v_bitop3_b32 v10, v71, 3, v3 bitop3:0x48
	v_cmp_eq_u32_e64 s0, 0, v9
	v_max3_i32 v32, v11, v31, v8
	s_delay_alu instid0(VALU_DEP_2) | instskip(SKIP_3) | instid1(VALU_DEP_4)
	v_add_co_ci_u32_e64 v9, null, 0, v8, s0
	v_bitop3_b32 v8, v72, 3, v3 bitop3:0x48
	v_cmp_eq_u32_e64 s0, 0, v10
	v_bitop3_b32 v3, v56, 3, v3 bitop3:0x48
	v_max3_i32 v33, v9, v32, v7
	s_delay_alu instid0(VALU_DEP_3) | instskip(SKIP_1) | instid1(VALU_DEP_2)
	v_add_co_ci_u32_e64 v10, null, 0, v7, s0
	v_cmp_eq_u32_e64 s0, 0, v8
	v_max3_i32 v34, v10, v33, v6
	s_delay_alu instid0(VALU_DEP_2) | instskip(SKIP_1) | instid1(VALU_DEP_2)
	v_add_co_ci_u32_e64 v7, null, 0, v6, s0
	v_cmp_eq_u32_e64 s0, 0, v3
	v_max3_i32 v35, v7, v34, v5
	s_delay_alu instid0(VALU_DEP_2) | instskip(SKIP_1) | instid1(VALU_DEP_2)
	v_add_co_ci_u32_e64 v3, null, 0, v5, s0
	v_dual_mov_b32 v4, 0 :: v_dual_add_nc_u32 v5, 0x1770, v4
	v_max3_i32 v36, v3, v35, v42
	scratch_store_b16 v5, v36, off offset:4
	s_wait_xcnt 0x0
	v_cmpx_eq_u32_e64 s22, v73
	s_cbranch_execz .LBB13_44
; %bb.41:                               ;   in Loop: Header=BB13_39 Depth=3
                                        ; implicit-def: $vgpr41
	s_and_saveexec_b32 s0, vcc_lo
	s_delay_alu instid0(SALU_CYCLE_1)
	s_xor_b32 s6, exec_lo, s0
	s_cbranch_execz .LBB13_43
; %bb.42:                               ;   in Loop: Header=BB13_39 Depth=3
	v_cmp_eq_u32_e64 s0, 1, v54
	s_mov_b32 s8, exec_lo
	v_cndmask_b32_e64 v3, v20, v21, s0
	v_cmp_eq_u32_e64 s0, 2, v54
	s_delay_alu instid0(VALU_DEP_1) | instskip(SKIP_1) | instid1(VALU_DEP_1)
	v_cndmask_b32_e64 v3, v3, v22, s0
	v_cmp_eq_u32_e64 s0, 3, v54
	v_cndmask_b32_e64 v3, v3, v23, s0
	v_cmp_eq_u32_e64 s0, 4, v54
	s_delay_alu instid0(VALU_DEP_1) | instskip(SKIP_1) | instid1(VALU_DEP_1)
	v_cndmask_b32_e64 v3, v3, v24, s0
	v_cmp_eq_u32_e64 s0, 5, v54
	;; [unrolled: 5-line block ×7, first 2 shown]
	v_cndmask_b32_e64 v3, v3, v35, s0
	v_cmp_eq_u32_e64 s0, 16, v54
	s_delay_alu instid0(VALU_DEP_1)
	v_cndmask_b32_e64 v41, v3, v36, s0
.LBB13_43:                              ;   in Loop: Header=BB13_39 Depth=3
	s_or_b32 exec_lo, exec_lo, s6
	v_dual_mov_b32 v4, 26 :: v_dual_mov_b32 v73, s22
	s_xor_b32 s6, exec_lo, -1
	s_and_b32 s8, s8, exec_lo
.LBB13_44:                              ;   in Loop: Header=BB13_39 Depth=3
	s_or_b32 exec_lo, exec_lo, s7
	s_delay_alu instid0(SALU_CYCLE_1)
	s_and_b32 s7, s8, exec_lo
                                        ; implicit-def: $vgpr3
                                        ; implicit-def: $vgpr9
                                        ; implicit-def: $vgpr40
                                        ; implicit-def: $vgpr39
                                        ; implicit-def: $vgpr38
                                        ; implicit-def: $vgpr37
                                        ; implicit-def: $vgpr16
                                        ; implicit-def: $vgpr15
                                        ; implicit-def: $vgpr14
                                        ; implicit-def: $vgpr13
                                        ; implicit-def: $vgpr12
                                        ; implicit-def: $vgpr11
                                        ; implicit-def: $vgpr10
                                        ; implicit-def: $vgpr8
                                        ; implicit-def: $vgpr7
                                        ; implicit-def: $vgpr6
                                        ; implicit-def: $vgpr5
	s_and_not1_saveexec_b32 s5, s5
	s_cbranch_execnz .LBB13_50
.LBB13_45:                              ;   in Loop: Header=BB13_39 Depth=3
	s_or_b32 exec_lo, exec_lo, s5
	s_and_saveexec_b32 s5, s7
	s_cbranch_execz .LBB13_47
.LBB13_46:                              ;   in Loop: Header=BB13_39 Depth=3
	v_cmp_ge_i32_e64 s0, v41, v58
	v_dual_mov_b32 v4, 1 :: v_dual_mov_b32 v73, s22
	s_and_not1_b32 s6, s6, exec_lo
	v_cndmask_b32_e64 v3, -1, s24, s0
	global_store_b32 v[52:53], v3, off
.LBB13_47:                              ;   in Loop: Header=BB13_39 Depth=3
	s_wait_xcnt 0x0
	s_or_b32 exec_lo, exec_lo, s5
	s_mov_b32 s0, -1
                                        ; implicit-def: $vgpr3
	s_and_saveexec_b32 s5, s6
	s_cbranch_execz .LBB13_38
; %bb.48:                               ;   in Loop: Header=BB13_39 Depth=3
	v_cmp_gt_i32_e64 s0, 2, v2
	v_dual_mov_b32 v4, 26 :: v_dual_add_nc_u32 v3, -2, v2
	s_or_not1_b32 s0, s0, exec_lo
	s_branch .LBB13_38
.LBB13_49:                              ;   in Loop: Header=BB13_39 Depth=3
	s_and_not1_saveexec_b32 s5, s5
	s_cbranch_execz .LBB13_45
.LBB13_50:                              ;   in Loop: Header=BB13_39 Depth=3
	s_mov_b32 s0, s7
                                        ; implicit-def: $vgpr41
	s_and_saveexec_b32 s8, vcc_lo
	s_cbranch_execz .LBB13_52
; %bb.51:                               ;   in Loop: Header=BB13_39 Depth=3
	v_cmp_eq_u32_e64 s0, 1, v54
	s_delay_alu instid0(VALU_DEP_1) | instskip(SKIP_1) | instid1(VALU_DEP_1)
	v_cndmask_b32_e64 v2, v9, v40, s0
	v_cmp_eq_u32_e64 s0, 2, v54
	v_cndmask_b32_e64 v2, v2, v39, s0
	v_cmp_eq_u32_e64 s0, 3, v54
	s_delay_alu instid0(VALU_DEP_1) | instskip(SKIP_1) | instid1(VALU_DEP_1)
	v_cndmask_b32_e64 v2, v2, v38, s0
	v_cmp_eq_u32_e64 s0, 4, v54
	v_cndmask_b32_e64 v2, v2, v37, s0
	;; [unrolled: 5-line block ×8, first 2 shown]
	s_or_b32 s0, s7, exec_lo
.LBB13_52:                              ;   in Loop: Header=BB13_39 Depth=3
	s_or_b32 exec_lo, exec_lo, s8
	v_dual_mov_b32 v4, 26 :: v_dual_mov_b32 v73, s22
	v_mov_b32_e32 v2, v3
	s_and_not1_b32 s7, s7, exec_lo
	s_and_b32 s0, s0, exec_lo
	s_and_not1_b32 s6, s6, exec_lo
	s_or_b32 s7, s7, s0
	s_or_b32 exec_lo, exec_lo, s5
	s_and_saveexec_b32 s5, s7
	s_cbranch_execz .LBB13_47
	s_branch .LBB13_46
.LBB13_53:                              ;   in Loop: Header=BB13_37 Depth=2
	s_or_b32 exec_lo, exec_lo, s4
	s_mov_b32 s4, -1
	s_mov_b32 s5, exec_lo
	v_cmpx_eq_u32_e32 26, v4
	s_cbranch_execz .LBB13_36
; %bb.54:                               ;   in Loop: Header=BB13_37 Depth=2
	s_add_co_i32 s0, s3, 1
	s_cmp_eq_u32 s3, s19
	v_mov_b32_e32 v4, 23
	s_cselect_b32 s3, -1, 0
	s_delay_alu instid0(SALU_CYCLE_1)
	s_or_not1_b32 s4, s3, exec_lo
	s_mov_b32 s3, s0
	s_branch .LBB13_36
.LBB13_55:
	s_sendmsg sendmsg(MSG_DEALLOC_VGPRS)
	s_endpgm
	.section	.rodata,"a",@progbits
	.p2align	6, 0x0
	.amdhsa_kernel _Z12kernel_alignfPKiPKlPKjS0_iPii
		.amdhsa_group_segment_fixed_size 0
		.amdhsa_private_segment_fixed_size 12016
		.amdhsa_kernarg_size 320
		.amdhsa_user_sgpr_count 2
		.amdhsa_user_sgpr_dispatch_ptr 0
		.amdhsa_user_sgpr_queue_ptr 0
		.amdhsa_user_sgpr_kernarg_segment_ptr 1
		.amdhsa_user_sgpr_dispatch_id 0
		.amdhsa_user_sgpr_kernarg_preload_length 0
		.amdhsa_user_sgpr_kernarg_preload_offset 0
		.amdhsa_user_sgpr_private_segment_size 0
		.amdhsa_wavefront_size32 1
		.amdhsa_uses_dynamic_stack 0
		.amdhsa_enable_private_segment 1
		.amdhsa_system_sgpr_workgroup_id_x 1
		.amdhsa_system_sgpr_workgroup_id_y 0
		.amdhsa_system_sgpr_workgroup_id_z 0
		.amdhsa_system_sgpr_workgroup_info 0
		.amdhsa_system_vgpr_workitem_id 0
		.amdhsa_next_free_vgpr 76
		.amdhsa_next_free_sgpr 28
		.amdhsa_named_barrier_count 0
		.amdhsa_reserve_vcc 1
		.amdhsa_float_round_mode_32 0
		.amdhsa_float_round_mode_16_64 0
		.amdhsa_float_denorm_mode_32 3
		.amdhsa_float_denorm_mode_16_64 3
		.amdhsa_fp16_overflow 0
		.amdhsa_memory_ordered 1
		.amdhsa_forward_progress 1
		.amdhsa_inst_pref_size 46
		.amdhsa_round_robin_scheduling 0
		.amdhsa_exception_fp_ieee_invalid_op 0
		.amdhsa_exception_fp_denorm_src 0
		.amdhsa_exception_fp_ieee_div_zero 0
		.amdhsa_exception_fp_ieee_overflow 0
		.amdhsa_exception_fp_ieee_underflow 0
		.amdhsa_exception_fp_ieee_inexact 0
		.amdhsa_exception_int_div_zero 0
	.end_amdhsa_kernel
	.text
.Lfunc_end13:
	.size	_Z12kernel_alignfPKiPKlPKjS0_iPii, .Lfunc_end13-_Z12kernel_alignfPKiPKlPKjS0_iPii
                                        ; -- End function
	.set _Z12kernel_alignfPKiPKlPKjS0_iPii.num_vgpr, 76
	.set _Z12kernel_alignfPKiPKlPKjS0_iPii.num_agpr, 0
	.set _Z12kernel_alignfPKiPKlPKjS0_iPii.numbered_sgpr, 28
	.set _Z12kernel_alignfPKiPKlPKjS0_iPii.num_named_barrier, 0
	.set _Z12kernel_alignfPKiPKlPKjS0_iPii.private_seg_size, 12016
	.set _Z12kernel_alignfPKiPKlPKjS0_iPii.uses_vcc, 1
	.set _Z12kernel_alignfPKiPKlPKjS0_iPii.uses_flat_scratch, 0
	.set _Z12kernel_alignfPKiPKlPKjS0_iPii.has_dyn_sized_stack, 0
	.set _Z12kernel_alignfPKiPKlPKjS0_iPii.has_recursion, 0
	.set _Z12kernel_alignfPKiPKlPKjS0_iPii.has_indirect_call, 0
	.section	.AMDGPU.csdata,"",@progbits
; Kernel info:
; codeLenInByte = 5828
; TotalNumSgprs: 30
; NumVgprs: 76
; ScratchSize: 12016
; MemoryBound: 0
; FloatMode: 240
; IeeeMode: 1
; LDSByteSize: 0 bytes/workgroup (compile time only)
; SGPRBlocks: 0
; VGPRBlocks: 4
; NumSGPRsForWavesPerEU: 30
; NumVGPRsForWavesPerEU: 76
; NamedBarCnt: 0
; Occupancy: 12
; WaveLimiterHint : 1
; COMPUTE_PGM_RSRC2:SCRATCH_EN: 1
; COMPUTE_PGM_RSRC2:USER_SGPR: 2
; COMPUTE_PGM_RSRC2:TRAP_HANDLER: 0
; COMPUTE_PGM_RSRC2:TGID_X_EN: 1
; COMPUTE_PGM_RSRC2:TGID_Y_EN: 0
; COMPUTE_PGM_RSRC2:TGID_Z_EN: 0
; COMPUTE_PGM_RSRC2:TIDIG_COMP_CNT: 0
	.text
	.p2alignl 7, 3214868480
	.fill 96, 4, 3214868480
	.section	.AMDGPU.gpr_maximums,"",@progbits
	.set amdgpu.max_num_vgpr, 0
	.set amdgpu.max_num_agpr, 0
	.set amdgpu.max_num_sgpr, 0
	.text
	.type	__hip_cuid_f2c4a6b2bcf16a03,@object ; @__hip_cuid_f2c4a6b2bcf16a03
	.section	.bss,"aw",@nobits
	.globl	__hip_cuid_f2c4a6b2bcf16a03
__hip_cuid_f2c4a6b2bcf16a03:
	.byte	0                               ; 0x0
	.size	__hip_cuid_f2c4a6b2bcf16a03, 1

	.ident	"AMD clang version 22.0.0git (https://github.com/RadeonOpenCompute/llvm-project roc-7.2.4 26084 f58b06dce1f9c15707c5f808fd002e18c2accf7e)"
	.section	".note.GNU-stack","",@progbits
	.addrsig
	.addrsig_sym __hip_cuid_f2c4a6b2bcf16a03
	.amdgpu_metadata
---
amdhsa.kernels:
  - .args:
      - .address_space:  global
        .offset:         0
        .size:           8
        .value_kind:     global_buffer
      - .offset:         8
        .size:           8
        .value_kind:     by_value
      - .offset:         16
        .size:           4
        .value_kind:     hidden_block_count_x
      - .offset:         20
        .size:           4
        .value_kind:     hidden_block_count_y
      - .offset:         24
        .size:           4
        .value_kind:     hidden_block_count_z
      - .offset:         28
        .size:           2
        .value_kind:     hidden_group_size_x
      - .offset:         30
        .size:           2
        .value_kind:     hidden_group_size_y
      - .offset:         32
        .size:           2
        .value_kind:     hidden_group_size_z
      - .offset:         34
        .size:           2
        .value_kind:     hidden_remainder_x
      - .offset:         36
        .size:           2
        .value_kind:     hidden_remainder_y
      - .offset:         38
        .size:           2
        .value_kind:     hidden_remainder_z
      - .offset:         56
        .size:           8
        .value_kind:     hidden_global_offset_x
      - .offset:         64
        .size:           8
        .value_kind:     hidden_global_offset_y
      - .offset:         72
        .size:           8
        .value_kind:     hidden_global_offset_z
      - .offset:         80
        .size:           2
        .value_kind:     hidden_grid_dims
    .group_segment_fixed_size: 0
    .kernarg_segment_align: 8
    .kernarg_segment_size: 272
    .language:       OpenCL C
    .language_version:
      - 2
      - 0
    .max_flat_workgroup_size: 1024
    .name:           _Z19kernel_baseToNumberPcl
    .private_segment_fixed_size: 0
    .sgpr_count:     24
    .sgpr_spill_count: 0
    .symbol:         _Z19kernel_baseToNumberPcl.kd
    .uniform_work_group_size: 1
    .uses_dynamic_stack: false
    .vgpr_count:     26
    .vgpr_spill_count: 0
    .wavefront_size: 32
  - .args:
      - .address_space:  global
        .offset:         0
        .size:           8
        .value_kind:     global_buffer
      - .address_space:  global
        .offset:         8
        .size:           8
        .value_kind:     global_buffer
      - .address_space:  global
        .offset:         16
        .size:           8
        .value_kind:     global_buffer
      - .address_space:  global
        .offset:         24
        .size:           8
        .value_kind:     global_buffer
      - .address_space:  global
        .offset:         32
        .size:           8
        .value_kind:     global_buffer
      - .offset:         40
        .size:           4
        .value_kind:     by_value
      - .offset:         48
        .size:           4
        .value_kind:     hidden_block_count_x
      - .offset:         52
        .size:           4
        .value_kind:     hidden_block_count_y
      - .offset:         56
        .size:           4
        .value_kind:     hidden_block_count_z
      - .offset:         60
        .size:           2
        .value_kind:     hidden_group_size_x
      - .offset:         62
        .size:           2
        .value_kind:     hidden_group_size_y
      - .offset:         64
        .size:           2
        .value_kind:     hidden_group_size_z
      - .offset:         66
        .size:           2
        .value_kind:     hidden_remainder_x
      - .offset:         68
        .size:           2
        .value_kind:     hidden_remainder_y
      - .offset:         70
        .size:           2
        .value_kind:     hidden_remainder_z
      - .offset:         88
        .size:           8
        .value_kind:     hidden_global_offset_x
      - .offset:         96
        .size:           8
        .value_kind:     hidden_global_offset_y
      - .offset:         104
        .size:           8
        .value_kind:     hidden_global_offset_z
      - .offset:         112
        .size:           2
        .value_kind:     hidden_grid_dims
    .group_segment_fixed_size: 0
    .kernarg_segment_align: 8
    .kernarg_segment_size: 304
    .language:       OpenCL C
    .language_version:
      - 2
      - 0
    .max_flat_workgroup_size: 1024
    .name:           _Z19kernel_compressDataPKiPKlPKcPjPii
    .private_segment_fixed_size: 0
    .sgpr_count:     14
    .sgpr_spill_count: 0
    .symbol:         _Z19kernel_compressDataPKiPKlPKcPjPii.kd
    .uniform_work_group_size: 1
    .uses_dynamic_stack: false
    .vgpr_count:     14
    .vgpr_spill_count: 0
    .wavefront_size: 32
  - .args:
      - .address_space:  global
        .offset:         0
        .size:           8
        .value_kind:     global_buffer
      - .address_space:  global
        .offset:         8
        .size:           8
        .value_kind:     global_buffer
      - .address_space:  global
        .offset:         16
        .size:           8
        .value_kind:     global_buffer
      - .address_space:  global
        .offset:         24
        .size:           8
        .value_kind:     global_buffer
      - .address_space:  global
        .offset:         32
        .size:           8
        .value_kind:     global_buffer
      - .address_space:  global
        .offset:         40
        .size:           8
        .value_kind:     global_buffer
      - .address_space:  global
        .offset:         48
        .size:           8
        .value_kind:     global_buffer
      - .offset:         56
        .size:           4
        .value_kind:     by_value
      - .offset:         64
        .size:           4
        .value_kind:     hidden_block_count_x
      - .offset:         68
        .size:           4
        .value_kind:     hidden_block_count_y
      - .offset:         72
        .size:           4
        .value_kind:     hidden_block_count_z
      - .offset:         76
        .size:           2
        .value_kind:     hidden_group_size_x
      - .offset:         78
        .size:           2
        .value_kind:     hidden_group_size_y
      - .offset:         80
        .size:           2
        .value_kind:     hidden_group_size_z
      - .offset:         82
        .size:           2
        .value_kind:     hidden_remainder_x
      - .offset:         84
        .size:           2
        .value_kind:     hidden_remainder_y
      - .offset:         86
        .size:           2
        .value_kind:     hidden_remainder_z
      - .offset:         104
        .size:           8
        .value_kind:     hidden_global_offset_x
      - .offset:         112
        .size:           8
        .value_kind:     hidden_global_offset_y
      - .offset:         120
        .size:           8
        .value_kind:     hidden_global_offset_z
      - .offset:         128
        .size:           2
        .value_kind:     hidden_grid_dims
    .group_segment_fixed_size: 0
    .kernarg_segment_align: 8
    .kernarg_segment_size: 320
    .language:       OpenCL C
    .language_version:
      - 2
      - 0
    .max_flat_workgroup_size: 1024
    .name:           _Z19kernel_createIndex4PKcPKiPKlPtS5_PlPii
    .private_segment_fixed_size: 0
    .sgpr_count:     14
    .sgpr_spill_count: 0
    .symbol:         _Z19kernel_createIndex4PKcPKiPKlPtS5_PlPii.kd
    .uniform_work_group_size: 1
    .uses_dynamic_stack: false
    .vgpr_count:     23
    .vgpr_spill_count: 0
    .wavefront_size: 32
  - .args:
      - .address_space:  global
        .offset:         0
        .size:           8
        .value_kind:     global_buffer
      - .address_space:  global
        .offset:         8
        .size:           8
        .value_kind:     global_buffer
      - .address_space:  global
        .offset:         16
        .size:           8
        .value_kind:     global_buffer
      - .address_space:  global
        .offset:         24
        .size:           8
        .value_kind:     global_buffer
      - .address_space:  global
        .offset:         32
        .size:           8
        .value_kind:     global_buffer
      - .address_space:  global
        .offset:         40
        .size:           8
        .value_kind:     global_buffer
      - .address_space:  global
        .offset:         48
        .size:           8
        .value_kind:     global_buffer
      - .offset:         56
        .size:           4
        .value_kind:     by_value
      - .offset:         64
        .size:           4
        .value_kind:     hidden_block_count_x
      - .offset:         68
        .size:           4
        .value_kind:     hidden_block_count_y
      - .offset:         72
        .size:           4
        .value_kind:     hidden_block_count_z
      - .offset:         76
        .size:           2
        .value_kind:     hidden_group_size_x
      - .offset:         78
        .size:           2
        .value_kind:     hidden_group_size_y
      - .offset:         80
        .size:           2
        .value_kind:     hidden_group_size_z
      - .offset:         82
        .size:           2
        .value_kind:     hidden_remainder_x
      - .offset:         84
        .size:           2
        .value_kind:     hidden_remainder_y
      - .offset:         86
        .size:           2
        .value_kind:     hidden_remainder_z
      - .offset:         104
        .size:           8
        .value_kind:     hidden_global_offset_x
      - .offset:         112
        .size:           8
        .value_kind:     hidden_global_offset_y
      - .offset:         120
        .size:           8
        .value_kind:     hidden_global_offset_z
      - .offset:         128
        .size:           2
        .value_kind:     hidden_grid_dims
    .group_segment_fixed_size: 0
    .kernarg_segment_align: 8
    .kernarg_segment_size: 320
    .language:       OpenCL C
    .language_version:
      - 2
      - 0
    .max_flat_workgroup_size: 1024
    .name:           _Z19kernel_createIndex5PKcPKiPKlPtS5_PlPii
    .private_segment_fixed_size: 0
    .sgpr_count:     14
    .sgpr_spill_count: 0
    .symbol:         _Z19kernel_createIndex5PKcPKiPKlPtS5_PlPii.kd
    .uniform_work_group_size: 1
    .uses_dynamic_stack: false
    .vgpr_count:     28
    .vgpr_spill_count: 0
    .wavefront_size: 32
  - .args:
      - .address_space:  global
        .offset:         0
        .size:           8
        .value_kind:     global_buffer
      - .address_space:  global
        .offset:         8
        .size:           8
        .value_kind:     global_buffer
      - .address_space:  global
        .offset:         16
        .size:           8
        .value_kind:     global_buffer
      - .address_space:  global
        .offset:         24
        .size:           8
        .value_kind:     global_buffer
      - .address_space:  global
        .offset:         32
        .size:           8
        .value_kind:     global_buffer
      - .address_space:  global
        .offset:         40
        .size:           8
        .value_kind:     global_buffer
      - .address_space:  global
        .offset:         48
        .size:           8
        .value_kind:     global_buffer
      - .offset:         56
        .size:           4
        .value_kind:     by_value
      - .offset:         64
        .size:           4
        .value_kind:     hidden_block_count_x
      - .offset:         68
        .size:           4
        .value_kind:     hidden_block_count_y
      - .offset:         72
        .size:           4
        .value_kind:     hidden_block_count_z
      - .offset:         76
        .size:           2
        .value_kind:     hidden_group_size_x
      - .offset:         78
        .size:           2
        .value_kind:     hidden_group_size_y
      - .offset:         80
        .size:           2
        .value_kind:     hidden_group_size_z
      - .offset:         82
        .size:           2
        .value_kind:     hidden_remainder_x
      - .offset:         84
        .size:           2
        .value_kind:     hidden_remainder_y
      - .offset:         86
        .size:           2
        .value_kind:     hidden_remainder_z
      - .offset:         104
        .size:           8
        .value_kind:     hidden_global_offset_x
      - .offset:         112
        .size:           8
        .value_kind:     hidden_global_offset_y
      - .offset:         120
        .size:           8
        .value_kind:     hidden_global_offset_z
      - .offset:         128
        .size:           2
        .value_kind:     hidden_grid_dims
    .group_segment_fixed_size: 0
    .kernarg_segment_align: 8
    .kernarg_segment_size: 320
    .language:       OpenCL C
    .language_version:
      - 2
      - 0
    .max_flat_workgroup_size: 1024
    .name:           _Z19kernel_createIndex6PKcPKiPKlPtS5_PlPii
    .private_segment_fixed_size: 0
    .sgpr_count:     14
    .sgpr_spill_count: 0
    .symbol:         _Z19kernel_createIndex6PKcPKiPKlPtS5_PlPii.kd
    .uniform_work_group_size: 1
    .uses_dynamic_stack: false
    .vgpr_count:     29
    .vgpr_spill_count: 0
    .wavefront_size: 32
  - .args:
      - .address_space:  global
        .offset:         0
        .size:           8
        .value_kind:     global_buffer
      - .address_space:  global
        .offset:         8
        .size:           8
        .value_kind:     global_buffer
      - .address_space:  global
        .offset:         16
        .size:           8
        .value_kind:     global_buffer
      - .address_space:  global
        .offset:         24
        .size:           8
        .value_kind:     global_buffer
      - .address_space:  global
        .offset:         32
        .size:           8
        .value_kind:     global_buffer
      - .address_space:  global
        .offset:         40
        .size:           8
        .value_kind:     global_buffer
      - .address_space:  global
        .offset:         48
        .size:           8
        .value_kind:     global_buffer
      - .offset:         56
        .size:           4
        .value_kind:     by_value
      - .offset:         64
        .size:           4
        .value_kind:     hidden_block_count_x
      - .offset:         68
        .size:           4
        .value_kind:     hidden_block_count_y
      - .offset:         72
        .size:           4
        .value_kind:     hidden_block_count_z
      - .offset:         76
        .size:           2
        .value_kind:     hidden_group_size_x
      - .offset:         78
        .size:           2
        .value_kind:     hidden_group_size_y
      - .offset:         80
        .size:           2
        .value_kind:     hidden_group_size_z
      - .offset:         82
        .size:           2
        .value_kind:     hidden_remainder_x
      - .offset:         84
        .size:           2
        .value_kind:     hidden_remainder_y
      - .offset:         86
        .size:           2
        .value_kind:     hidden_remainder_z
      - .offset:         104
        .size:           8
        .value_kind:     hidden_global_offset_x
      - .offset:         112
        .size:           8
        .value_kind:     hidden_global_offset_y
      - .offset:         120
        .size:           8
        .value_kind:     hidden_global_offset_z
      - .offset:         128
        .size:           2
        .value_kind:     hidden_grid_dims
    .group_segment_fixed_size: 0
    .kernarg_segment_align: 8
    .kernarg_segment_size: 320
    .language:       OpenCL C
    .language_version:
      - 2
      - 0
    .max_flat_workgroup_size: 1024
    .name:           _Z19kernel_createIndex7PKcPKiPKlPtS5_PlPii
    .private_segment_fixed_size: 0
    .sgpr_count:     14
    .sgpr_spill_count: 0
    .symbol:         _Z19kernel_createIndex7PKcPKiPKlPtS5_PlPii.kd
    .uniform_work_group_size: 1
    .uses_dynamic_stack: false
    .vgpr_count:     30
    .vgpr_spill_count: 0
    .wavefront_size: 32
  - .args:
      - .offset:         0
        .size:           4
        .value_kind:     by_value
      - .offset:         4
        .size:           4
        .value_kind:     by_value
      - .address_space:  global
        .offset:         8
        .size:           8
        .value_kind:     global_buffer
      - .address_space:  global
        .offset:         16
        .size:           8
        .value_kind:     global_buffer
      - .address_space:  global
        .offset:         24
        .size:           8
        .value_kind:     global_buffer
      - .offset:         32
        .size:           4
        .value_kind:     by_value
      - .offset:         40
        .size:           4
        .value_kind:     hidden_block_count_x
      - .offset:         44
        .size:           4
        .value_kind:     hidden_block_count_y
      - .offset:         48
        .size:           4
        .value_kind:     hidden_block_count_z
      - .offset:         52
        .size:           2
        .value_kind:     hidden_group_size_x
      - .offset:         54
        .size:           2
        .value_kind:     hidden_group_size_y
      - .offset:         56
        .size:           2
        .value_kind:     hidden_group_size_z
      - .offset:         58
        .size:           2
        .value_kind:     hidden_remainder_x
      - .offset:         60
        .size:           2
        .value_kind:     hidden_remainder_y
      - .offset:         62
        .size:           2
        .value_kind:     hidden_remainder_z
      - .offset:         80
        .size:           8
        .value_kind:     hidden_global_offset_x
      - .offset:         88
        .size:           8
        .value_kind:     hidden_global_offset_y
      - .offset:         96
        .size:           8
        .value_kind:     hidden_global_offset_z
      - .offset:         104
        .size:           2
        .value_kind:     hidden_grid_dims
    .group_segment_fixed_size: 0
    .kernarg_segment_align: 8
    .kernarg_segment_size: 296
    .language:       OpenCL C
    .language_version:
      - 2
      - 0
    .max_flat_workgroup_size: 1024
    .name:           _Z19kernel_createCutofffiPKiPlPii
    .private_segment_fixed_size: 0
    .sgpr_count:     8
    .sgpr_spill_count: 0
    .symbol:         _Z19kernel_createCutofffiPKiPlPii.kd
    .uniform_work_group_size: 1
    .uses_dynamic_stack: false
    .vgpr_count:     3
    .vgpr_spill_count: 0
    .wavefront_size: 32
  - .args:
      - .address_space:  global
        .offset:         0
        .size:           8
        .value_kind:     global_buffer
      - .address_space:  global
        .offset:         8
        .size:           8
        .value_kind:     global_buffer
      - .address_space:  global
        .offset:         16
        .size:           8
        .value_kind:     global_buffer
      - .address_space:  global
        .offset:         24
        .size:           8
        .value_kind:     global_buffer
      - .offset:         32
        .size:           4
        .value_kind:     by_value
      - .offset:         40
        .size:           4
        .value_kind:     hidden_block_count_x
      - .offset:         44
        .size:           4
        .value_kind:     hidden_block_count_y
      - .offset:         48
        .size:           4
        .value_kind:     hidden_block_count_z
      - .offset:         52
        .size:           2
        .value_kind:     hidden_group_size_x
      - .offset:         54
        .size:           2
        .value_kind:     hidden_group_size_y
      - .offset:         56
        .size:           2
        .value_kind:     hidden_group_size_z
      - .offset:         58
        .size:           2
        .value_kind:     hidden_remainder_x
      - .offset:         60
        .size:           2
        .value_kind:     hidden_remainder_y
      - .offset:         62
        .size:           2
        .value_kind:     hidden_remainder_z
      - .offset:         80
        .size:           8
        .value_kind:     hidden_global_offset_x
      - .offset:         88
        .size:           8
        .value_kind:     hidden_global_offset_y
      - .offset:         96
        .size:           8
        .value_kind:     hidden_global_offset_z
      - .offset:         104
        .size:           2
        .value_kind:     hidden_grid_dims
    .group_segment_fixed_size: 0
    .kernarg_segment_align: 8
    .kernarg_segment_size: 296
    .language:       OpenCL C
    .language_version:
      - 2
      - 0
    .max_flat_workgroup_size: 1024
    .name:           _Z17kernel_mergeIndexPKlPKtPtS0_i
    .private_segment_fixed_size: 0
    .sgpr_count:     14
    .sgpr_spill_count: 0
    .symbol:         _Z17kernel_mergeIndexPKlPKtPtS0_i.kd
    .uniform_work_group_size: 1
    .uses_dynamic_stack: false
    .vgpr_count:     9
    .vgpr_spill_count: 0
    .wavefront_size: 32
  - .args:
      - .address_space:  global
        .offset:         0
        .size:           8
        .value_kind:     global_buffer
      - .address_space:  global
        .offset:         8
        .size:           8
        .value_kind:     global_buffer
      - .offset:         16
        .size:           4
        .value_kind:     by_value
    .group_segment_fixed_size: 0
    .kernarg_segment_align: 8
    .kernarg_segment_size: 20
    .language:       OpenCL C
    .language_version:
      - 2
      - 0
    .max_flat_workgroup_size: 1024
    .name:           _Z27kernel_updateRepresentativePiS_i
    .private_segment_fixed_size: 0
    .sgpr_count:     11
    .sgpr_spill_count: 0
    .symbol:         _Z27kernel_updateRepresentativePiS_i.kd
    .uniform_work_group_size: 1
    .uses_dynamic_stack: false
    .vgpr_count:     2
    .vgpr_spill_count: 0
    .wavefront_size: 32
  - .args:
      - .address_space:  global
        .offset:         0
        .size:           8
        .value_kind:     global_buffer
      - .address_space:  global
        .offset:         8
        .size:           8
        .value_kind:     global_buffer
      - .address_space:  global
        .offset:         16
        .size:           8
        .value_kind:     global_buffer
      - .address_space:  global
        .offset:         24
        .size:           8
        .value_kind:     global_buffer
      - .address_space:  global
        .offset:         32
        .size:           8
        .value_kind:     global_buffer
      - .offset:         40
        .size:           4
        .value_kind:     by_value
      - .offset:         48
        .size:           4
        .value_kind:     hidden_block_count_x
      - .offset:         52
        .size:           4
        .value_kind:     hidden_block_count_y
      - .offset:         56
        .size:           4
        .value_kind:     hidden_block_count_z
      - .offset:         60
        .size:           2
        .value_kind:     hidden_group_size_x
      - .offset:         62
        .size:           2
        .value_kind:     hidden_group_size_y
      - .offset:         64
        .size:           2
        .value_kind:     hidden_group_size_z
      - .offset:         66
        .size:           2
        .value_kind:     hidden_remainder_x
      - .offset:         68
        .size:           2
        .value_kind:     hidden_remainder_y
      - .offset:         70
        .size:           2
        .value_kind:     hidden_remainder_z
      - .offset:         88
        .size:           8
        .value_kind:     hidden_global_offset_x
      - .offset:         96
        .size:           8
        .value_kind:     hidden_global_offset_y
      - .offset:         104
        .size:           8
        .value_kind:     hidden_global_offset_z
      - .offset:         112
        .size:           2
        .value_kind:     hidden_grid_dims
    .group_segment_fixed_size: 0
    .kernarg_segment_align: 8
    .kernarg_segment_size: 304
    .language:       OpenCL C
    .language_version:
      - 2
      - 0
    .max_flat_workgroup_size: 1024
    .name:           _Z16kernel_makeTablePKlPKtS2_S0_Pti
    .private_segment_fixed_size: 0
    .sgpr_count:     17
    .sgpr_spill_count: 0
    .symbol:         _Z16kernel_makeTablePKlPKtS2_S0_Pti.kd
    .uniform_work_group_size: 1
    .uses_dynamic_stack: false
    .vgpr_count:     7
    .vgpr_spill_count: 0
    .wavefront_size: 32
  - .args:
      - .address_space:  global
        .offset:         0
        .size:           8
        .value_kind:     global_buffer
      - .address_space:  global
        .offset:         8
        .size:           8
        .value_kind:     global_buffer
      - .address_space:  global
        .offset:         16
        .size:           8
        .value_kind:     global_buffer
      - .address_space:  global
        .offset:         24
        .size:           8
        .value_kind:     global_buffer
      - .address_space:  global
        .offset:         32
        .size:           8
        .value_kind:     global_buffer
      - .offset:         40
        .size:           4
        .value_kind:     by_value
      - .offset:         48
        .size:           4
        .value_kind:     hidden_block_count_x
      - .offset:         52
        .size:           4
        .value_kind:     hidden_block_count_y
      - .offset:         56
        .size:           4
        .value_kind:     hidden_block_count_z
      - .offset:         60
        .size:           2
        .value_kind:     hidden_group_size_x
      - .offset:         62
        .size:           2
        .value_kind:     hidden_group_size_y
      - .offset:         64
        .size:           2
        .value_kind:     hidden_group_size_z
      - .offset:         66
        .size:           2
        .value_kind:     hidden_remainder_x
      - .offset:         68
        .size:           2
        .value_kind:     hidden_remainder_y
      - .offset:         70
        .size:           2
        .value_kind:     hidden_remainder_z
      - .offset:         88
        .size:           8
        .value_kind:     hidden_global_offset_x
      - .offset:         96
        .size:           8
        .value_kind:     hidden_global_offset_y
      - .offset:         104
        .size:           8
        .value_kind:     hidden_global_offset_z
      - .offset:         112
        .size:           2
        .value_kind:     hidden_grid_dims
    .group_segment_fixed_size: 0
    .kernarg_segment_align: 8
    .kernarg_segment_size: 304
    .language:       OpenCL C
    .language_version:
      - 2
      - 0
    .max_flat_workgroup_size: 1024
    .name:           _Z17kernel_cleanTablePKlPKtS2_S0_Pti
    .private_segment_fixed_size: 0
    .sgpr_count:     17
    .sgpr_spill_count: 0
    .symbol:         _Z17kernel_cleanTablePKlPKtS2_S0_Pti.kd
    .uniform_work_group_size: 1
    .uses_dynamic_stack: false
    .vgpr_count:     7
    .vgpr_spill_count: 0
    .wavefront_size: 32
  - .args:
      - .offset:         0
        .size:           4
        .value_kind:     by_value
      - .address_space:  global
        .offset:         8
        .size:           8
        .value_kind:     global_buffer
      - .address_space:  global
        .offset:         16
        .size:           8
        .value_kind:     global_buffer
      - .address_space:  global
        .offset:         24
        .size:           8
        .value_kind:     global_buffer
      - .offset:         32
        .size:           4
        .value_kind:     by_value
      - .offset:         36
        .size:           4
        .value_kind:     by_value
      - .offset:         40
        .size:           4
        .value_kind:     hidden_block_count_x
      - .offset:         44
        .size:           4
        .value_kind:     hidden_block_count_y
      - .offset:         48
        .size:           4
        .value_kind:     hidden_block_count_z
      - .offset:         52
        .size:           2
        .value_kind:     hidden_group_size_x
      - .offset:         54
        .size:           2
        .value_kind:     hidden_group_size_y
      - .offset:         56
        .size:           2
        .value_kind:     hidden_group_size_z
      - .offset:         58
        .size:           2
        .value_kind:     hidden_remainder_x
      - .offset:         60
        .size:           2
        .value_kind:     hidden_remainder_y
      - .offset:         62
        .size:           2
        .value_kind:     hidden_remainder_z
      - .offset:         80
        .size:           8
        .value_kind:     hidden_global_offset_x
      - .offset:         88
        .size:           8
        .value_kind:     hidden_global_offset_y
      - .offset:         96
        .size:           8
        .value_kind:     hidden_global_offset_z
      - .offset:         104
        .size:           2
        .value_kind:     hidden_grid_dims
    .group_segment_fixed_size: 0
    .kernarg_segment_align: 8
    .kernarg_segment_size: 296
    .language:       OpenCL C
    .language_version:
      - 2
      - 0
    .max_flat_workgroup_size: 1024
    .name:           _Z12kernel_magicfPKiS0_Piii
    .private_segment_fixed_size: 0
    .sgpr_count:     15
    .sgpr_spill_count: 0
    .symbol:         _Z12kernel_magicfPKiS0_Piii.kd
    .uniform_work_group_size: 1
    .uses_dynamic_stack: false
    .vgpr_count:     11
    .vgpr_spill_count: 0
    .wavefront_size: 32
  - .args:
      - .offset:         0
        .size:           4
        .value_kind:     by_value
      - .offset:         4
        .size:           4
        .value_kind:     by_value
      - .address_space:  global
        .offset:         8
        .size:           8
        .value_kind:     global_buffer
      - .address_space:  global
        .offset:         16
        .size:           8
        .value_kind:     global_buffer
      - .address_space:  global
        .offset:         24
        .size:           8
        .value_kind:     global_buffer
      - .address_space:  global
        .offset:         32
        .size:           8
        .value_kind:     global_buffer
      - .address_space:  global
        .offset:         40
        .size:           8
        .value_kind:     global_buffer
      - .address_space:  global
        .offset:         48
        .size:           8
        .value_kind:     global_buffer
      - .address_space:  global
        .offset:         56
        .size:           8
        .value_kind:     global_buffer
      - .address_space:  global
        .offset:         64
        .size:           8
        .value_kind:     global_buffer
      - .offset:         72
        .size:           4
        .value_kind:     by_value
    .group_segment_fixed_size: 512
    .kernarg_segment_align: 8
    .kernarg_segment_size: 76
    .language:       OpenCL C
    .language_version:
      - 2
      - 0
    .max_flat_workgroup_size: 1024
    .name:           _Z13kernel_filterfiPKiPKlPKtS4_S2_S0_PiS4_i
    .private_segment_fixed_size: 0
    .sgpr_count:     24
    .sgpr_spill_count: 0
    .symbol:         _Z13kernel_filterfiPKiPKlPKtS4_S2_S0_PiS4_i.kd
    .uniform_work_group_size: 1
    .uses_dynamic_stack: false
    .vgpr_count:     16
    .vgpr_spill_count: 0
    .wavefront_size: 32
  - .args:
      - .offset:         0
        .size:           4
        .value_kind:     by_value
      - .address_space:  global
        .offset:         8
        .size:           8
        .value_kind:     global_buffer
      - .address_space:  global
        .offset:         16
        .size:           8
        .value_kind:     global_buffer
      - .address_space:  global
        .offset:         24
        .size:           8
        .value_kind:     global_buffer
      - .address_space:  global
        .offset:         32
        .size:           8
        .value_kind:     global_buffer
      - .offset:         40
        .size:           4
        .value_kind:     by_value
      - .address_space:  global
        .offset:         48
        .size:           8
        .value_kind:     global_buffer
      - .offset:         56
        .size:           4
        .value_kind:     by_value
      - .offset:         64
        .size:           4
        .value_kind:     hidden_block_count_x
      - .offset:         68
        .size:           4
        .value_kind:     hidden_block_count_y
      - .offset:         72
        .size:           4
        .value_kind:     hidden_block_count_z
      - .offset:         76
        .size:           2
        .value_kind:     hidden_group_size_x
      - .offset:         78
        .size:           2
        .value_kind:     hidden_group_size_y
      - .offset:         80
        .size:           2
        .value_kind:     hidden_group_size_z
      - .offset:         82
        .size:           2
        .value_kind:     hidden_remainder_x
      - .offset:         84
        .size:           2
        .value_kind:     hidden_remainder_y
      - .offset:         86
        .size:           2
        .value_kind:     hidden_remainder_z
      - .offset:         104
        .size:           8
        .value_kind:     hidden_global_offset_x
      - .offset:         112
        .size:           8
        .value_kind:     hidden_global_offset_y
      - .offset:         120
        .size:           8
        .value_kind:     hidden_global_offset_z
      - .offset:         128
        .size:           2
        .value_kind:     hidden_grid_dims
    .group_segment_fixed_size: 0
    .kernarg_segment_align: 8
    .kernarg_segment_size: 320
    .language:       OpenCL C
    .language_version:
      - 2
      - 0
    .max_flat_workgroup_size: 1024
    .name:           _Z12kernel_alignfPKiPKlPKjS0_iPii
    .private_segment_fixed_size: 12016
    .sgpr_count:     30
    .sgpr_spill_count: 0
    .symbol:         _Z12kernel_alignfPKiPKlPKjS0_iPii.kd
    .uniform_work_group_size: 1
    .uses_dynamic_stack: false
    .vgpr_count:     76
    .vgpr_spill_count: 0
    .wavefront_size: 32
amdhsa.target:   amdgcn-amd-amdhsa--gfx1250
amdhsa.version:
  - 1
  - 2
...

	.end_amdgpu_metadata
